;; amdgpu-corpus repo=ggml-org/llama.cpp kind=compiled arch=gfx90a opt=O3
	.text
	.amdgcn_target "amdgcn-amd-amdhsa--gfx90a"
	.amdhsa_code_object_version 6
	.section	.text._ZL16k_get_rows_floatI6__halffEvPKT_PKiPT0_ll15HIP_vector_typeIjLj3EEmmmmmmmmm,"axG",@progbits,_ZL16k_get_rows_floatI6__halffEvPKT_PKiPT0_ll15HIP_vector_typeIjLj3EEmmmmmmmmm,comdat
	.globl	_ZL16k_get_rows_floatI6__halffEvPKT_PKiPT0_ll15HIP_vector_typeIjLj3EEmmmmmmmmm ; -- Begin function _ZL16k_get_rows_floatI6__halffEvPKT_PKiPT0_ll15HIP_vector_typeIjLj3EEmmmmmmmmm
	.p2align	8
	.type	_ZL16k_get_rows_floatI6__halffEvPKT_PKiPT0_ll15HIP_vector_typeIjLj3EEmmmmmmmmm,@function
_ZL16k_get_rows_floatI6__halffEvPKT_PKiPT0_ll15HIP_vector_typeIjLj3EEmmmmmmmmm: ; @_ZL16k_get_rows_floatI6__halffEvPKT_PKiPT0_ll15HIP_vector_typeIjLj3EEmmmmmmmmm
; %bb.0:
	s_load_dwordx2 s[0:1], s[4:5], 0x20
	s_load_dwordx2 s[2:3], s[4:5], 0x2c
	s_mov_b32 s9, 0
	v_pk_mov_b32 v[2:3], s[8:9], s[8:9] op_sel:[0,1]
	s_waitcnt lgkmcnt(0)
	s_mul_i32 s1, s3, s1
	s_mul_hi_u32 s10, s3, s0
	s_add_i32 s31, s10, s1
	s_mul_i32 s30, s3, s0
	v_cmp_le_i64_e32 vcc, s[30:31], v[2:3]
	s_cbranch_vccnz .LBB0_6
; %bb.1:
	s_load_dwordx8 s[36:43], s[4:5], 0x0
	s_load_dwordx2 s[10:11], s[4:5], 0x78
	s_load_dwordx2 s[28:29], s[4:5], 0x88
	s_load_dword s33, s[4:5], 0x28
	s_load_dwordx16 s[12:27], s[4:5], 0x38
	s_add_u32 s4, s4, 0x80
	s_addc_u32 s5, s5, 0
	s_waitcnt lgkmcnt(0)
	s_and_b32 s29, s29, 0xffff
	s_mul_i32 s7, s7, s29
	v_add_u32_e32 v0, s7, v0
	s_ashr_i32 s7, s6, 31
	s_mul_i32 s25, s6, s25
	s_mul_hi_u32 s34, s6, s24
	s_add_i32 s25, s34, s25
	s_mul_i32 s34, s7, s24
	s_add_i32 s25, s25, s34
	s_mul_i32 s24, s6, s24
	s_lshl_b64 s[24:25], s[24:25], 2
	s_add_u32 s38, s38, s24
	s_mul_hi_u32 s24, s12, s6
	s_mul_i32 s7, s12, s7
	s_addc_u32 s39, s39, s25
	s_add_i32 s7, s24, s7
	s_mul_i32 s13, s13, s6
	s_add_i32 s7, s7, s13
	s_mul_i32 s6, s12, s6
	s_lshl_b64 s[6:7], s[6:7], 2
	v_mov_b32_e32 v1, 0
	s_add_u32 s6, s40, s6
	v_lshlrev_b64 v[2:3], 2, v[0:1]
	s_addc_u32 s7, s41, s7
	v_mov_b32_e32 v4, s7
	v_add_co_u32_e32 v10, vcc, s6, v2
	v_addc_co_u32_e32 v11, vcc, v4, v3, vcc
	v_lshlrev_b64 v[2:3], 1, v[0:1]
	v_mov_b32_e32 v4, s37
	v_add_co_u32_e32 v12, vcc, s36, v2
	v_cmp_gt_i64_e64 s[0:1], s[42:43], v[0:1]
	s_lshl_b64 s[6:7], s[14:15], 2
	s_lshl_b64 s[12:13], s[16:17], 2
	v_addc_co_u32_e32 v13, vcc, v4, v3, vcc
	v_pk_mov_b32 v[2:3], s[30:31], s[30:31] op_sel:[0,1]
	s_mov_b64 s[14:15], s[8:9]
	s_branch .LBB0_3
.LBB0_2:                                ;   in Loop: Header=BB0_3 Depth=1
	s_or_b64 exec, exec, s[16:17]
	s_add_u32 s14, s14, s28
	s_addc_u32 s15, s15, 0
	v_cmp_lt_i64_e32 vcc, s[14:15], v[2:3]
	s_cbranch_vccz .LBB0_6
.LBB0_3:                                ; =>This Loop Header: Depth=1
                                        ;     Child Loop BB0_5 Depth 2
	s_and_saveexec_b64 s[16:17], s[0:1]
	s_cbranch_execz .LBB0_2
; %bb.4:                                ;   in Loop: Header=BB0_3 Depth=1
	s_mul_hi_u32 s8, s14, s33
	s_add_i32 s8, s8, s14
	s_lshr_b32 s34, s8, s2
	s_mul_i32 s8, s34, s3
	s_sub_i32 s35, s14, s8
	s_ashr_i32 s36, s34, 31
	s_mul_i32 s8, s34, s27
	s_mul_hi_u32 s24, s34, s26
	s_add_i32 s8, s24, s8
	s_mul_i32 s24, s36, s26
	s_add_i32 s25, s8, s24
	s_ashr_i32 s37, s35, 31
	s_mul_i32 s8, s35, s11
	s_mul_hi_u32 s30, s35, s10
	s_mul_i32 s24, s34, s26
	s_add_i32 s8, s30, s8
	s_mul_i32 s30, s37, s10
	s_add_i32 s31, s8, s30
	s_lshl_b64 s[24:25], s[24:25], 2
	s_mul_i32 s30, s35, s10
	s_add_u32 s8, s38, s24
	s_addc_u32 s40, s39, s25
	s_lshl_b64 s[24:25], s[30:31], 2
	s_add_u32 s24, s8, s24
	s_addc_u32 s25, s40, s25
	s_load_dword s8, s[24:25], 0x0
	s_mul_i32 s41, s34, s20
	v_mov_b32_e32 v14, s9
	v_pk_mov_b32 v[8:9], v[0:1], v[0:1] op_sel:[0,1]
	s_waitcnt lgkmcnt(0)
	s_ashr_i32 s24, s8, 31
	s_mul_i32 s25, s8, s19
	s_mul_hi_u32 s30, s8, s18
	s_add_i32 s25, s30, s25
	s_mul_i32 s24, s24, s18
	s_add_i32 s30, s25, s24
	s_load_dword s25, s[4:5], 0x4
	s_mul_i32 s31, s8, s18
	s_mul_i32 s8, s34, s21
	s_mul_hi_u32 s24, s34, s20
	s_add_i32 s8, s24, s8
	s_mul_i32 s24, s36, s20
	s_add_i32 s40, s8, s24
	s_waitcnt lgkmcnt(0)
	s_mul_i32 s8, s25, s29
	s_mul_i32 s24, s6, s36
	s_mul_hi_u32 s25, s6, s34
	s_add_i32 s24, s25, s24
	s_mul_i32 s25, s7, s34
	s_add_i32 s24, s24, s25
	s_mul_i32 s25, s6, s34
	s_mul_i32 s34, s12, s37
	s_mul_hi_u32 s36, s12, s35
	s_add_i32 s34, s36, s34
	s_mul_i32 s36, s13, s35
	s_add_i32 s34, s34, s36
	s_mul_i32 s36, s12, s35
	s_add_u32 s25, s25, s36
	s_addc_u32 s24, s24, s34
	v_mov_b32_e32 v5, s24
	v_add_co_u32_e32 v4, vcc, s25, v10
	s_lshl_b64 s[24:25], s[8:9], 2
	s_add_u32 s31, s41, s31
	s_mul_i32 s34, s22, s37
	s_mul_hi_u32 s36, s22, s35
	s_addc_u32 s30, s40, s30
	s_add_i32 s34, s36, s34
	s_mul_i32 s36, s23, s35
	s_add_i32 s34, s34, s36
	s_mul_i32 s35, s22, s35
	s_add_u32 s31, s31, s35
	v_addc_co_u32_e32 v5, vcc, v11, v5, vcc
	s_addc_u32 s30, s30, s34
	v_mov_b32_e32 v7, s30
	v_add_co_u32_e32 v6, vcc, s31, v12
	s_lshl_b64 s[30:31], s[8:9], 1
	v_addc_co_u32_e32 v7, vcc, v13, v7, vcc
	s_mov_b64 s[34:35], 0
	v_mov_b32_e32 v15, s25
	v_mov_b32_e32 v16, s31
.LBB0_5:                                ;   Parent Loop BB0_3 Depth=1
                                        ; =>  This Inner Loop Header: Depth=2
	global_load_ushort v17, v[6:7], off
	v_add_co_u32_e32 v8, vcc, s8, v8
	v_addc_co_u32_e32 v9, vcc, v9, v14, vcc
	v_add_co_u32_e32 v6, vcc, s30, v6
	v_addc_co_u32_e32 v7, vcc, v7, v16, vcc
	v_cmp_le_i64_e32 vcc, s[42:43], v[8:9]
	s_or_b64 s[34:35], vcc, s[34:35]
	s_waitcnt vmcnt(0)
	v_cvt_f32_f16_e32 v17, v17
	global_store_dword v[4:5], v17, off
	v_add_co_u32_e32 v4, vcc, s24, v4
	v_addc_co_u32_e32 v5, vcc, v5, v15, vcc
	s_andn2_b64 exec, exec, s[34:35]
	s_cbranch_execnz .LBB0_5
	s_branch .LBB0_2
.LBB0_6:
	s_endpgm
	.section	.rodata,"a",@progbits
	.p2align	6, 0x0
	.amdhsa_kernel _ZL16k_get_rows_floatI6__halffEvPKT_PKiPT0_ll15HIP_vector_typeIjLj3EEmmmmmmmmm
		.amdhsa_group_segment_fixed_size 0
		.amdhsa_private_segment_fixed_size 0
		.amdhsa_kernarg_size 384
		.amdhsa_user_sgpr_count 6
		.amdhsa_user_sgpr_private_segment_buffer 1
		.amdhsa_user_sgpr_dispatch_ptr 0
		.amdhsa_user_sgpr_queue_ptr 0
		.amdhsa_user_sgpr_kernarg_segment_ptr 1
		.amdhsa_user_sgpr_dispatch_id 0
		.amdhsa_user_sgpr_flat_scratch_init 0
		.amdhsa_user_sgpr_kernarg_preload_length 0
		.amdhsa_user_sgpr_kernarg_preload_offset 0
		.amdhsa_user_sgpr_private_segment_size 0
		.amdhsa_uses_dynamic_stack 0
		.amdhsa_system_sgpr_private_segment_wavefront_offset 0
		.amdhsa_system_sgpr_workgroup_id_x 1
		.amdhsa_system_sgpr_workgroup_id_y 1
		.amdhsa_system_sgpr_workgroup_id_z 1
		.amdhsa_system_sgpr_workgroup_info 0
		.amdhsa_system_vgpr_workitem_id 0
		.amdhsa_next_free_vgpr 18
		.amdhsa_next_free_sgpr 44
		.amdhsa_accum_offset 20
		.amdhsa_reserve_vcc 1
		.amdhsa_reserve_flat_scratch 0
		.amdhsa_float_round_mode_32 0
		.amdhsa_float_round_mode_16_64 0
		.amdhsa_float_denorm_mode_32 3
		.amdhsa_float_denorm_mode_16_64 3
		.amdhsa_dx10_clamp 1
		.amdhsa_ieee_mode 1
		.amdhsa_fp16_overflow 0
		.amdhsa_tg_split 0
		.amdhsa_exception_fp_ieee_invalid_op 0
		.amdhsa_exception_fp_denorm_src 0
		.amdhsa_exception_fp_ieee_div_zero 0
		.amdhsa_exception_fp_ieee_overflow 0
		.amdhsa_exception_fp_ieee_underflow 0
		.amdhsa_exception_fp_ieee_inexact 0
		.amdhsa_exception_int_div_zero 0
	.end_amdhsa_kernel
	.section	.text._ZL16k_get_rows_floatI6__halffEvPKT_PKiPT0_ll15HIP_vector_typeIjLj3EEmmmmmmmmm,"axG",@progbits,_ZL16k_get_rows_floatI6__halffEvPKT_PKiPT0_ll15HIP_vector_typeIjLj3EEmmmmmmmmm,comdat
.Lfunc_end0:
	.size	_ZL16k_get_rows_floatI6__halffEvPKT_PKiPT0_ll15HIP_vector_typeIjLj3EEmmmmmmmmm, .Lfunc_end0-_ZL16k_get_rows_floatI6__halffEvPKT_PKiPT0_ll15HIP_vector_typeIjLj3EEmmmmmmmmm
                                        ; -- End function
	.section	.AMDGPU.csdata,"",@progbits
; Kernel info:
; codeLenInByte = 712
; NumSgprs: 48
; NumVgprs: 18
; NumAgprs: 0
; TotalNumVgprs: 18
; ScratchSize: 0
; MemoryBound: 0
; FloatMode: 240
; IeeeMode: 1
; LDSByteSize: 0 bytes/workgroup (compile time only)
; SGPRBlocks: 5
; VGPRBlocks: 2
; NumSGPRsForWavesPerEU: 48
; NumVGPRsForWavesPerEU: 18
; AccumOffset: 20
; Occupancy: 8
; WaveLimiterHint : 1
; COMPUTE_PGM_RSRC2:SCRATCH_EN: 0
; COMPUTE_PGM_RSRC2:USER_SGPR: 6
; COMPUTE_PGM_RSRC2:TRAP_HANDLER: 0
; COMPUTE_PGM_RSRC2:TGID_X_EN: 1
; COMPUTE_PGM_RSRC2:TGID_Y_EN: 1
; COMPUTE_PGM_RSRC2:TGID_Z_EN: 1
; COMPUTE_PGM_RSRC2:TIDIG_COMP_CNT: 0
; COMPUTE_PGM_RSRC3_GFX90A:ACCUM_OFFSET: 4
; COMPUTE_PGM_RSRC3_GFX90A:TG_SPLIT: 0
	.section	.text._ZL16k_get_rows_floatIffEvPKT_PKiPT0_ll15HIP_vector_typeIjLj3EEmmmmmmmmm,"axG",@progbits,_ZL16k_get_rows_floatIffEvPKT_PKiPT0_ll15HIP_vector_typeIjLj3EEmmmmmmmmm,comdat
	.globl	_ZL16k_get_rows_floatIffEvPKT_PKiPT0_ll15HIP_vector_typeIjLj3EEmmmmmmmmm ; -- Begin function _ZL16k_get_rows_floatIffEvPKT_PKiPT0_ll15HIP_vector_typeIjLj3EEmmmmmmmmm
	.p2align	8
	.type	_ZL16k_get_rows_floatIffEvPKT_PKiPT0_ll15HIP_vector_typeIjLj3EEmmmmmmmmm,@function
_ZL16k_get_rows_floatIffEvPKT_PKiPT0_ll15HIP_vector_typeIjLj3EEmmmmmmmmm: ; @_ZL16k_get_rows_floatIffEvPKT_PKiPT0_ll15HIP_vector_typeIjLj3EEmmmmmmmmm
; %bb.0:
	s_load_dwordx2 s[0:1], s[4:5], 0x20
	s_load_dwordx2 s[2:3], s[4:5], 0x2c
	s_mov_b32 s9, 0
	v_pk_mov_b32 v[2:3], s[8:9], s[8:9] op_sel:[0,1]
	s_waitcnt lgkmcnt(0)
	s_mul_i32 s1, s3, s1
	s_mul_hi_u32 s10, s3, s0
	s_add_i32 s31, s10, s1
	s_mul_i32 s30, s3, s0
	v_cmp_le_i64_e32 vcc, s[30:31], v[2:3]
	s_cbranch_vccnz .LBB1_6
; %bb.1:
	s_load_dwordx8 s[36:43], s[4:5], 0x0
	s_load_dwordx2 s[10:11], s[4:5], 0x78
	s_load_dwordx2 s[28:29], s[4:5], 0x88
	s_load_dword s33, s[4:5], 0x28
	s_load_dwordx16 s[12:27], s[4:5], 0x38
	s_add_u32 s4, s4, 0x80
	s_addc_u32 s5, s5, 0
	s_waitcnt lgkmcnt(0)
	s_and_b32 s29, s29, 0xffff
	s_mul_i32 s7, s7, s29
	v_add_u32_e32 v0, s7, v0
	s_ashr_i32 s7, s6, 31
	s_mul_i32 s25, s6, s25
	s_mul_hi_u32 s34, s6, s24
	s_add_i32 s25, s34, s25
	s_mul_i32 s34, s7, s24
	s_add_i32 s25, s25, s34
	s_mul_i32 s24, s6, s24
	s_lshl_b64 s[24:25], s[24:25], 2
	s_add_u32 s38, s38, s24
	s_mul_hi_u32 s24, s12, s6
	s_mul_i32 s7, s12, s7
	s_addc_u32 s39, s39, s25
	s_add_i32 s7, s24, s7
	s_mul_i32 s13, s13, s6
	s_add_i32 s7, s7, s13
	s_mul_i32 s6, s12, s6
	s_lshl_b64 s[6:7], s[6:7], 2
	v_mov_b32_e32 v1, 0
	s_add_u32 s6, s40, s6
	v_lshlrev_b64 v[2:3], 2, v[0:1]
	s_addc_u32 s7, s41, s7
	v_mov_b32_e32 v4, s7
	v_add_co_u32_e32 v6, vcc, s6, v2
	v_addc_co_u32_e32 v7, vcc, v4, v3, vcc
	v_mov_b32_e32 v4, s37
	v_add_co_u32_e32 v8, vcc, s36, v2
	v_cmp_gt_i64_e64 s[0:1], s[42:43], v[0:1]
	s_lshl_b64 s[6:7], s[14:15], 2
	s_lshl_b64 s[12:13], s[16:17], 2
	v_addc_co_u32_e32 v9, vcc, v4, v3, vcc
	v_pk_mov_b32 v[2:3], s[30:31], s[30:31] op_sel:[0,1]
	s_mov_b64 s[14:15], s[8:9]
	s_branch .LBB1_3
.LBB1_2:                                ;   in Loop: Header=BB1_3 Depth=1
	s_or_b64 exec, exec, s[16:17]
	s_add_u32 s14, s14, s28
	s_addc_u32 s15, s15, 0
	v_cmp_lt_i64_e32 vcc, s[14:15], v[2:3]
	s_cbranch_vccz .LBB1_6
.LBB1_3:                                ; =>This Loop Header: Depth=1
                                        ;     Child Loop BB1_5 Depth 2
	s_and_saveexec_b64 s[16:17], s[0:1]
	s_cbranch_execz .LBB1_2
; %bb.4:                                ;   in Loop: Header=BB1_3 Depth=1
	s_mul_hi_u32 s8, s14, s33
	s_add_i32 s8, s8, s14
	s_lshr_b32 s34, s8, s2
	s_mul_i32 s8, s34, s3
	s_sub_i32 s35, s14, s8
	s_ashr_i32 s36, s34, 31
	s_mul_i32 s8, s34, s27
	s_mul_hi_u32 s24, s34, s26
	s_add_i32 s8, s24, s8
	s_mul_i32 s24, s36, s26
	s_add_i32 s25, s8, s24
	s_ashr_i32 s37, s35, 31
	s_mul_i32 s8, s35, s11
	s_mul_hi_u32 s30, s35, s10
	s_mul_i32 s24, s34, s26
	s_add_i32 s8, s30, s8
	s_mul_i32 s30, s37, s10
	s_add_i32 s31, s8, s30
	s_lshl_b64 s[24:25], s[24:25], 2
	s_mul_i32 s30, s35, s10
	s_add_u32 s8, s38, s24
	s_addc_u32 s40, s39, s25
	s_lshl_b64 s[24:25], s[30:31], 2
	s_add_u32 s24, s8, s24
	s_addc_u32 s25, s40, s25
	s_load_dword s8, s[24:25], 0x0
	s_mul_i32 s41, s34, s20
	v_mov_b32_e32 v14, s9
	s_waitcnt lgkmcnt(0)
	s_ashr_i32 s24, s8, 31
	s_mul_i32 s25, s8, s19
	s_mul_hi_u32 s30, s8, s18
	s_add_i32 s25, s30, s25
	s_mul_i32 s24, s24, s18
	s_add_i32 s30, s25, s24
	s_load_dword s25, s[4:5], 0x4
	s_mul_i32 s31, s8, s18
	s_mul_i32 s8, s34, s21
	s_mul_hi_u32 s24, s34, s20
	s_add_i32 s8, s24, s8
	s_mul_i32 s24, s36, s20
	s_add_i32 s40, s8, s24
	s_waitcnt lgkmcnt(0)
	s_mul_i32 s8, s25, s29
	s_mul_i32 s24, s6, s36
	s_mul_hi_u32 s25, s6, s34
	s_add_i32 s24, s25, s24
	s_mul_i32 s25, s7, s34
	s_add_i32 s24, s24, s25
	s_mul_i32 s25, s6, s34
	s_mul_i32 s34, s12, s37
	s_mul_hi_u32 s36, s12, s35
	s_add_i32 s34, s36, s34
	s_mul_i32 s36, s13, s35
	s_add_i32 s34, s34, s36
	s_mul_i32 s36, s12, s35
	s_add_u32 s25, s25, s36
	s_addc_u32 s24, s24, s34
	v_mov_b32_e32 v4, s24
	v_add_co_u32_e32 v10, vcc, s25, v6
	s_lshl_b64 s[24:25], s[8:9], 2
	s_add_u32 s31, s41, s31
	s_mul_i32 s34, s22, s37
	s_mul_hi_u32 s36, s22, s35
	s_addc_u32 s30, s40, s30
	s_add_i32 s34, s36, s34
	s_mul_i32 s36, s23, s35
	s_add_i32 s34, s34, s36
	s_mul_i32 s35, s22, s35
	s_add_u32 s31, s31, s35
	v_addc_co_u32_e32 v11, vcc, v7, v4, vcc
	s_addc_u32 s30, s30, s34
	v_mov_b32_e32 v4, s30
	v_add_co_u32_e32 v12, vcc, s31, v8
	v_addc_co_u32_e32 v13, vcc, v9, v4, vcc
	s_mov_b64 s[30:31], 0
	s_mov_b64 s[34:35], 0
	v_pk_mov_b32 v[4:5], v[0:1], v[0:1] op_sel:[0,1]
.LBB1_5:                                ;   Parent Loop BB1_3 Depth=1
                                        ; =>  This Inner Loop Header: Depth=2
	v_mov_b32_e32 v15, s35
	v_add_co_u32_e32 v16, vcc, s34, v12
	v_addc_co_u32_e32 v17, vcc, v13, v15, vcc
	global_load_dword v18, v[16:17], off
	v_add_co_u32_e32 v4, vcc, s8, v4
	v_addc_co_u32_e32 v5, vcc, v5, v14, vcc
	v_add_co_u32_e32 v16, vcc, s34, v10
	s_add_u32 s34, s34, s24
	v_addc_co_u32_e32 v17, vcc, v11, v15, vcc
	s_addc_u32 s35, s35, s25
	v_cmp_le_i64_e32 vcc, s[42:43], v[4:5]
	s_or_b64 s[30:31], vcc, s[30:31]
	s_waitcnt vmcnt(0)
	global_store_dword v[16:17], v18, off
	s_andn2_b64 exec, exec, s[30:31]
	s_cbranch_execnz .LBB1_5
	s_branch .LBB1_2
.LBB1_6:
	s_endpgm
	.section	.rodata,"a",@progbits
	.p2align	6, 0x0
	.amdhsa_kernel _ZL16k_get_rows_floatIffEvPKT_PKiPT0_ll15HIP_vector_typeIjLj3EEmmmmmmmmm
		.amdhsa_group_segment_fixed_size 0
		.amdhsa_private_segment_fixed_size 0
		.amdhsa_kernarg_size 384
		.amdhsa_user_sgpr_count 6
		.amdhsa_user_sgpr_private_segment_buffer 1
		.amdhsa_user_sgpr_dispatch_ptr 0
		.amdhsa_user_sgpr_queue_ptr 0
		.amdhsa_user_sgpr_kernarg_segment_ptr 1
		.amdhsa_user_sgpr_dispatch_id 0
		.amdhsa_user_sgpr_flat_scratch_init 0
		.amdhsa_user_sgpr_kernarg_preload_length 0
		.amdhsa_user_sgpr_kernarg_preload_offset 0
		.amdhsa_user_sgpr_private_segment_size 0
		.amdhsa_uses_dynamic_stack 0
		.amdhsa_system_sgpr_private_segment_wavefront_offset 0
		.amdhsa_system_sgpr_workgroup_id_x 1
		.amdhsa_system_sgpr_workgroup_id_y 1
		.amdhsa_system_sgpr_workgroup_id_z 1
		.amdhsa_system_sgpr_workgroup_info 0
		.amdhsa_system_vgpr_workitem_id 0
		.amdhsa_next_free_vgpr 19
		.amdhsa_next_free_sgpr 44
		.amdhsa_accum_offset 20
		.amdhsa_reserve_vcc 1
		.amdhsa_reserve_flat_scratch 0
		.amdhsa_float_round_mode_32 0
		.amdhsa_float_round_mode_16_64 0
		.amdhsa_float_denorm_mode_32 3
		.amdhsa_float_denorm_mode_16_64 3
		.amdhsa_dx10_clamp 1
		.amdhsa_ieee_mode 1
		.amdhsa_fp16_overflow 0
		.amdhsa_tg_split 0
		.amdhsa_exception_fp_ieee_invalid_op 0
		.amdhsa_exception_fp_denorm_src 0
		.amdhsa_exception_fp_ieee_div_zero 0
		.amdhsa_exception_fp_ieee_overflow 0
		.amdhsa_exception_fp_ieee_underflow 0
		.amdhsa_exception_fp_ieee_inexact 0
		.amdhsa_exception_int_div_zero 0
	.end_amdhsa_kernel
	.section	.text._ZL16k_get_rows_floatIffEvPKT_PKiPT0_ll15HIP_vector_typeIjLj3EEmmmmmmmmm,"axG",@progbits,_ZL16k_get_rows_floatIffEvPKT_PKiPT0_ll15HIP_vector_typeIjLj3EEmmmmmmmmm,comdat
.Lfunc_end1:
	.size	_ZL16k_get_rows_floatIffEvPKT_PKiPT0_ll15HIP_vector_typeIjLj3EEmmmmmmmmm, .Lfunc_end1-_ZL16k_get_rows_floatIffEvPKT_PKiPT0_ll15HIP_vector_typeIjLj3EEmmmmmmmmm
                                        ; -- End function
	.section	.AMDGPU.csdata,"",@progbits
; Kernel info:
; codeLenInByte = 704
; NumSgprs: 48
; NumVgprs: 19
; NumAgprs: 0
; TotalNumVgprs: 19
; ScratchSize: 0
; MemoryBound: 0
; FloatMode: 240
; IeeeMode: 1
; LDSByteSize: 0 bytes/workgroup (compile time only)
; SGPRBlocks: 5
; VGPRBlocks: 2
; NumSGPRsForWavesPerEU: 48
; NumVGPRsForWavesPerEU: 19
; AccumOffset: 20
; Occupancy: 8
; WaveLimiterHint : 1
; COMPUTE_PGM_RSRC2:SCRATCH_EN: 0
; COMPUTE_PGM_RSRC2:USER_SGPR: 6
; COMPUTE_PGM_RSRC2:TRAP_HANDLER: 0
; COMPUTE_PGM_RSRC2:TGID_X_EN: 1
; COMPUTE_PGM_RSRC2:TGID_Y_EN: 1
; COMPUTE_PGM_RSRC2:TGID_Z_EN: 1
; COMPUTE_PGM_RSRC2:TIDIG_COMP_CNT: 0
; COMPUTE_PGM_RSRC3_GFX90A:ACCUM_OFFSET: 4
; COMPUTE_PGM_RSRC3_GFX90A:TG_SPLIT: 0
	.section	.text._ZL16k_get_rows_floatIifEvPKT_PKiPT0_ll15HIP_vector_typeIjLj3EEmmmmmmmmm,"axG",@progbits,_ZL16k_get_rows_floatIifEvPKT_PKiPT0_ll15HIP_vector_typeIjLj3EEmmmmmmmmm,comdat
	.globl	_ZL16k_get_rows_floatIifEvPKT_PKiPT0_ll15HIP_vector_typeIjLj3EEmmmmmmmmm ; -- Begin function _ZL16k_get_rows_floatIifEvPKT_PKiPT0_ll15HIP_vector_typeIjLj3EEmmmmmmmmm
	.p2align	8
	.type	_ZL16k_get_rows_floatIifEvPKT_PKiPT0_ll15HIP_vector_typeIjLj3EEmmmmmmmmm,@function
_ZL16k_get_rows_floatIifEvPKT_PKiPT0_ll15HIP_vector_typeIjLj3EEmmmmmmmmm: ; @_ZL16k_get_rows_floatIifEvPKT_PKiPT0_ll15HIP_vector_typeIjLj3EEmmmmmmmmm
; %bb.0:
	s_load_dwordx2 s[0:1], s[4:5], 0x20
	s_load_dwordx2 s[10:11], s[4:5], 0x2c
	s_mov_b32 s9, 0
	v_pk_mov_b32 v[2:3], s[8:9], s[8:9] op_sel:[0,1]
	s_waitcnt lgkmcnt(0)
	s_mul_i32 s1, s11, s1
	s_mul_hi_u32 s2, s11, s0
	s_add_i32 s29, s2, s1
	s_mul_i32 s28, s11, s0
	v_cmp_le_i64_e32 vcc, s[28:29], v[2:3]
	s_cbranch_vccnz .LBB2_19
; %bb.1:
	s_load_dwordx8 s[36:43], s[4:5], 0x0
	s_load_dwordx2 s[30:31], s[4:5], 0x78
	s_load_dwordx2 s[34:35], s[4:5], 0x88
	s_load_dword s33, s[4:5], 0x28
	s_load_dwordx16 s[12:27], s[4:5], 0x38
	s_add_u32 s44, s4, 0x80
	s_addc_u32 s45, s5, 0
	s_ashr_i32 s4, s6, 31
	s_waitcnt lgkmcnt(0)
	s_and_b32 s35, s35, 0xffff
	s_mul_i32 s2, s6, s25
	s_mul_hi_u32 s3, s6, s24
	s_add_i32 s2, s3, s2
	s_mul_i32 s3, s4, s24
	s_add_i32 s3, s2, s3
	s_mul_i32 s2, s6, s24
	s_lshl_b64 s[2:3], s[2:3], 2
	s_add_u32 s60, s38, s2
	s_addc_u32 s61, s39, s3
	s_mul_hi_u32 s2, s12, s6
	s_mul_i32 s3, s12, s4
	s_add_i32 s2, s2, s3
	s_mul_i32 s3, s13, s6
	s_add_i32 s3, s2, s3
	s_mul_i32 s2, s12, s6
	s_mul_i32 s7, s7, s35
	v_mov_b32_e32 v2, 0
	s_lshl_b64 s[12:13], s[2:3], 2
	s_lshl_b64 s[14:15], s[14:15], 2
	;; [unrolled: 1-line block ×3, first 2 shown]
	v_add_u32_e32 v0, s7, v0
	v_mov_b32_e32 v1, v2
	s_add_u32 s62, s40, s12
	v_cmp_gt_i64_e64 s[0:1], s[42:43], v[0:1]
	v_lshlrev_b64 v[4:5], 2, v[0:1]
	s_addc_u32 s63, s41, s13
	v_mov_b32_e32 v16, 0x4f800000
	s_mov_b64 s[24:25], s[8:9]
	s_branch .LBB2_3
.LBB2_2:                                ;   in Loop: Header=BB2_3 Depth=1
	s_or_b64 exec, exec, s[38:39]
	s_add_u32 s24, s24, s34
	s_addc_u32 s25, s25, 0
	v_pk_mov_b32 v[6:7], s[28:29], s[28:29] op_sel:[0,1]
	v_cmp_lt_i64_e32 vcc, s[24:25], v[6:7]
	s_cbranch_vccz .LBB2_19
.LBB2_3:                                ; =>This Loop Header: Depth=1
                                        ;     Child Loop BB2_10 Depth 2
                                        ;     Child Loop BB2_18 Depth 2
	s_and_saveexec_b64 s[38:39], s[0:1]
	s_cbranch_execz .LBB2_2
; %bb.4:                                ;   in Loop: Header=BB2_3 Depth=1
	s_mul_hi_u32 s2, s24, s33
	s_add_i32 s2, s2, s24
	s_lshr_b32 s49, s2, s10
	s_mul_i32 s2, s49, s11
	s_sub_i32 s48, s24, s2
	s_ashr_i32 s50, s49, 31
	s_mul_i32 s2, s49, s27
	s_mul_hi_u32 s3, s49, s26
	s_load_dword s8, s[44:45], 0x4
	s_add_i32 s2, s3, s2
	s_mul_i32 s3, s50, s26
	s_ashr_i32 s51, s48, 31
	s_mul_i32 s4, s48, s31
	s_mul_hi_u32 s5, s48, s30
	s_add_i32 s3, s2, s3
	s_mul_i32 s2, s49, s26
	s_add_i32 s4, s5, s4
	s_mul_i32 s5, s51, s30
	s_add_i32 s5, s4, s5
	s_lshl_b64 s[2:3], s[2:3], 2
	s_mul_i32 s4, s48, s30
	s_add_u32 s6, s60, s2
	s_addc_u32 s7, s61, s3
	s_lshl_b64 s[2:3], s[4:5], 2
	s_waitcnt lgkmcnt(0)
	s_mul_i32 s8, s8, s35
	s_add_u32 s6, s6, s2
	v_add_co_u32_e32 v6, vcc, s8, v0
	s_addc_u32 s7, s7, s3
	v_addc_co_u32_e64 v7, s[2:3], 0, 0, vcc
	v_cmp_gt_i64_e64 s[2:3], s[42:43], v[6:7]
	v_mov_b32_e32 v8, s42
	v_mov_b32_e32 v3, s43
	v_cndmask_b32_e64 v8, v6, v8, s[2:3]
	v_cndmask_b32_e64 v9, 0, 1, s[2:3]
	;; [unrolled: 1-line block ×3, first 2 shown]
	v_sub_co_u32_e32 v8, vcc, v8, v9
	v_subbrev_co_u32_e32 v3, vcc, 0, v3, vcc
	v_sub_co_u32_e32 v8, vcc, v8, v6
	v_subb_co_u32_e32 v3, vcc, v3, v7, vcc
	v_cmp_ne_u64_e32 vcc, 0, v[2:3]
                                        ; implicit-def: $vgpr6_vgpr7
	s_and_saveexec_b64 s[4:5], vcc
	s_xor_b64 s[46:47], exec, s[4:5]
	s_cbranch_execz .LBB2_6
; %bb.5:                                ;   in Loop: Header=BB2_3 Depth=1
	v_cvt_f32_u32_e32 v6, s8
	s_sub_u32 s4, 0, s8
	s_subb_u32 s5, 0, 0
	v_mac_f32_e32 v6, 0, v16
	v_rcp_f32_e32 v6, v6
	v_mul_f32_e32 v6, 0x5f7ffffc, v6
	v_mul_f32_e32 v7, 0x2f800000, v6
	v_trunc_f32_e32 v7, v7
	v_mac_f32_e32 v6, 0xcf800000, v7
	v_cvt_u32_f32_e32 v7, v7
	v_cvt_u32_f32_e32 v6, v6
	v_mul_lo_u32 v9, s4, v7
	v_mul_hi_u32 v11, s4, v6
	v_mul_lo_u32 v10, s5, v6
	v_add_u32_e32 v9, v11, v9
	v_mul_lo_u32 v12, s4, v6
	v_add_u32_e32 v9, v9, v10
	v_mul_hi_u32 v11, v6, v12
	v_mul_lo_u32 v13, v6, v9
	v_mul_hi_u32 v10, v6, v9
	v_add_co_u32_e32 v11, vcc, v11, v13
	v_addc_co_u32_e32 v10, vcc, 0, v10, vcc
	v_mul_hi_u32 v14, v7, v12
	v_mul_lo_u32 v12, v7, v12
	v_add_co_u32_e32 v11, vcc, v11, v12
	v_mul_hi_u32 v13, v7, v9
	v_addc_co_u32_e32 v10, vcc, v10, v14, vcc
	v_addc_co_u32_e32 v11, vcc, 0, v13, vcc
	v_mul_lo_u32 v9, v7, v9
	v_add_co_u32_e32 v9, vcc, v10, v9
	v_addc_co_u32_e32 v10, vcc, 0, v11, vcc
	v_add_co_u32_e32 v6, vcc, v6, v9
	v_addc_co_u32_e32 v7, vcc, v7, v10, vcc
	v_mul_lo_u32 v9, s4, v7
	v_mul_hi_u32 v10, s4, v6
	v_add_u32_e32 v9, v10, v9
	v_mul_lo_u32 v10, s5, v6
	v_add_u32_e32 v9, v9, v10
	v_mul_lo_u32 v11, s4, v6
	v_mul_hi_u32 v12, v7, v11
	v_mul_lo_u32 v13, v7, v11
	v_mul_lo_u32 v15, v6, v9
	v_mul_hi_u32 v11, v6, v11
	v_mul_hi_u32 v14, v6, v9
	v_add_co_u32_e32 v11, vcc, v11, v15
	v_addc_co_u32_e32 v14, vcc, 0, v14, vcc
	v_add_co_u32_e32 v11, vcc, v11, v13
	v_mul_hi_u32 v10, v7, v9
	v_addc_co_u32_e32 v11, vcc, v14, v12, vcc
	v_addc_co_u32_e32 v10, vcc, 0, v10, vcc
	v_mul_lo_u32 v9, v7, v9
	v_add_co_u32_e32 v9, vcc, v11, v9
	v_addc_co_u32_e32 v10, vcc, 0, v10, vcc
	v_add_co_u32_e32 v9, vcc, v6, v9
	v_addc_co_u32_e32 v10, vcc, v7, v10, vcc
	v_mad_u64_u32 v[6:7], s[4:5], v8, v10, 0
	v_mul_hi_u32 v11, v8, v9
	v_add_co_u32_e32 v12, vcc, v11, v6
	v_addc_co_u32_e32 v13, vcc, 0, v7, vcc
	v_mad_u64_u32 v[6:7], s[4:5], v3, v10, 0
	v_mad_u64_u32 v[10:11], s[4:5], v3, v9, 0
	v_add_co_u32_e32 v9, vcc, v12, v10
	v_addc_co_u32_e32 v9, vcc, v13, v11, vcc
	v_addc_co_u32_e32 v7, vcc, 0, v7, vcc
	v_add_co_u32_e32 v9, vcc, v9, v6
	v_addc_co_u32_e32 v12, vcc, 0, v7, vcc
	v_mad_u64_u32 v[6:7], s[4:5], s8, v9, 0
	v_mov_b32_e32 v10, v7
	v_mad_u64_u32 v[10:11], s[4:5], s8, v12, v[10:11]
	v_sub_co_u32_e32 v6, vcc, v8, v6
	v_subb_co_u32_e32 v3, vcc, v3, v10, vcc
	v_subrev_co_u32_e32 v7, vcc, s8, v6
	v_subbrev_co_u32_e32 v8, vcc, 0, v3, vcc
	v_cmp_le_u32_e32 vcc, s8, v7
	v_cndmask_b32_e64 v7, 0, -1, vcc
	v_cmp_eq_u32_e32 vcc, 0, v8
	v_cndmask_b32_e32 v7, -1, v7, vcc
	v_add_co_u32_e32 v8, vcc, 2, v9
	v_addc_co_u32_e32 v10, vcc, 0, v12, vcc
	v_add_co_u32_e32 v11, vcc, 1, v9
	v_cmp_le_u32_e64 s[4:5], s8, v6
	v_addc_co_u32_e32 v13, vcc, 0, v12, vcc
	v_cndmask_b32_e64 v6, 0, -1, s[4:5]
	v_cmp_eq_u32_e64 s[4:5], 0, v3
	v_cmp_ne_u32_e32 vcc, 0, v7
	v_cndmask_b32_e64 v3, -1, v6, s[4:5]
	v_cndmask_b32_e32 v7, v13, v10, vcc
	v_cmp_ne_u32_e64 s[4:5], 0, v3
	v_cndmask_b32_e32 v3, v11, v8, vcc
	v_cndmask_b32_e64 v7, v12, v7, s[4:5]
	v_cndmask_b32_e64 v6, v9, v3, s[4:5]
                                        ; implicit-def: $vgpr8
.LBB2_6:                                ;   in Loop: Header=BB2_3 Depth=1
	s_or_saveexec_b64 s[4:5], s[46:47]
	s_load_dword s65, s[6:7], 0x0
	s_xor_b64 exec, exec, s[4:5]
	s_cbranch_execz .LBB2_8
; %bb.7:                                ;   in Loop: Header=BB2_3 Depth=1
	v_cvt_f32_u32_e32 v3, s8
	s_sub_i32 s6, 0, s8
	v_rcp_iflag_f32_e32 v3, v3
	v_mul_f32_e32 v3, 0x4f7ffffe, v3
	v_cvt_u32_f32_e32 v3, v3
	v_mul_lo_u32 v6, s6, v3
	v_mul_hi_u32 v6, v3, v6
	v_add_u32_e32 v3, v3, v6
	v_mul_hi_u32 v3, v8, v3
	v_mul_lo_u32 v6, v3, s8
	v_sub_u32_e32 v6, v8, v6
	v_add_u32_e32 v7, 1, v3
	v_subrev_u32_e32 v8, s8, v6
	v_cmp_le_u32_e32 vcc, s8, v6
	v_cndmask_b32_e32 v6, v6, v8, vcc
	v_cndmask_b32_e32 v3, v3, v7, vcc
	v_add_u32_e32 v7, 1, v3
	v_cmp_le_u32_e32 vcc, s8, v6
	v_cndmask_b32_e32 v6, v3, v7, vcc
	v_mov_b32_e32 v7, v2
.LBB2_8:                                ;   in Loop: Header=BB2_3 Depth=1
	s_or_b64 exec, exec, s[4:5]
	s_waitcnt lgkmcnt(0)
	s_ashr_i32 s4, s65, 31
	s_mul_i32 s5, s65, s19
	s_mul_hi_u32 s6, s65, s18
	s_add_i32 s64, s6, s5
	s_mul_i32 s4, s4, s18
	v_cndmask_b32_e64 v3, 1, 2, s[2:3]
	s_add_i32 s64, s64, s4
	s_mul_i32 s4, s49, s21
	s_mul_hi_u32 s5, s49, s20
	v_add_co_u32_e32 v6, vcc, v3, v6
	s_add_i32 s66, s5, s4
	s_mul_i32 s4, s50, s20
	v_addc_co_u32_e32 v7, vcc, 0, v7, vcc
	s_mul_i32 s65, s65, s18
	s_add_i32 s66, s66, s4
	s_mul_i32 s67, s49, s20
	v_cmp_lt_u64_e32 vcc, 3, v[6:7]
	s_mov_b64 s[2:3], 0
	s_mul_i32 s68, s22, s51
	s_mul_hi_u32 s69, s22, s48
	s_mul_i32 s70, s23, s48
	s_mul_i32 s71, s22, s48
	s_mul_i32 s73, s14, s50
	s_mul_hi_u32 s74, s14, s49
	s_mul_i32 s75, s15, s49
	s_mul_i32 s72, s14, s49
	;; [unrolled: 4-line block ×3, first 2 shown]
                                        ; implicit-def: $vgpr10_vgpr11
                                        ; implicit-def: $sgpr52_sgpr53
                                        ; implicit-def: $vgpr12_vgpr13
                                        ; implicit-def: $sgpr50_sgpr51
                                        ; implicit-def: $sgpr46_sgpr47
	s_and_saveexec_b64 s[4:5], vcc
	s_xor_b64 s[48:49], exec, s[4:5]
	s_cbranch_execz .LBB2_14
; %bb.9:                                ;   in Loop: Header=BB2_3 Depth=1
	s_add_u32 s2, s67, s65
	s_addc_u32 s3, s66, s64
	s_add_i32 s4, s69, s68
	s_add_i32 s4, s4, s70
	s_add_u32 s46, s2, s71
	s_addc_u32 s47, s3, s4
	s_mul_i32 s5, s8, 12
	s_mul_hi_u32 s4, s8, 12
	s_add_u32 s2, s46, s5
	s_addc_u32 s3, s47, s4
	s_add_u32 s80, s36, s2
	s_addc_u32 s81, s37, s3
	s_lshl_b64 s[54:55], s[8:9], 4
	s_lshl_b64 s[2:3], s[8:9], 3
	s_add_u32 s6, s46, s2
	s_addc_u32 s7, s47, s3
	s_add_u32 s82, s36, s6
	s_addc_u32 s83, s37, s7
	s_lshl_b64 s[50:51], s[8:9], 2
	s_add_u32 s6, s46, s50
	s_addc_u32 s7, s47, s51
	s_add_u32 s84, s36, s6
	s_addc_u32 s85, s37, s7
	;; [unrolled: 2-line block ×3, first 2 shown]
	s_add_i32 s6, s74, s73
	s_add_i32 s7, s77, s76
	;; [unrolled: 1-line block ×4, first 2 shown]
	s_add_u32 s52, s72, s79
	s_addc_u32 s53, s6, s7
	s_add_u32 s6, s52, s12
	s_addc_u32 s7, s53, s13
	;; [unrolled: 2-line block ×7, first 2 shown]
	v_and_b32_e32 v8, -4, v6
	v_mov_b32_e32 v9, v7
	s_add_u32 s94, s62, s52
	s_addc_u32 s95, s63, s53
	s_mov_b64 s[56:57], 0
	s_mov_b64 s[58:59], s[40:41]
	v_pk_mov_b32 v[10:11], v[8:9], v[8:9] op_sel:[0,1]
.LBB2_10:                               ;   Parent Loop BB2_3 Depth=1
                                        ; =>  This Inner Loop Header: Depth=2
	v_mov_b32_e32 v3, s87
	v_add_co_u32_e64 v20, s[6:7], s86, v4
	v_mov_b32_e32 v13, s85
	v_add_co_u32_e32 v12, vcc, s84, v4
	v_mov_b32_e32 v15, s83
	v_add_co_u32_e64 v14, s[2:3], s82, v4
	v_mov_b32_e32 v17, s81
	v_add_co_u32_e64 v18, s[4:5], s80, v4
	v_addc_co_u32_e64 v21, s[6:7], v3, v5, s[6:7]
	v_addc_co_u32_e32 v13, vcc, v13, v5, vcc
	v_addc_co_u32_e64 v15, vcc, v15, v5, s[2:3]
	v_addc_co_u32_e64 v19, vcc, v17, v5, s[4:5]
	global_load_dword v3, v[20:21], off
	global_load_dword v17, v[12:13], off
	;; [unrolled: 1-line block ×4, first 2 shown]
	v_add_co_u32_e64 v10, s[4:5], -4, v10
	v_addc_co_u32_e64 v11, s[4:5], -1, v11, s[4:5]
	v_mov_b32_e32 v13, s95
	v_mov_b32_e32 v15, s93
	v_add_co_u32_e32 v12, vcc, s92, v4
	v_mov_b32_e32 v20, s91
	v_add_co_u32_e64 v14, s[2:3], s90, v4
	s_add_u32 s6, s88, s58
	v_add_co_u32_e64 v18, s[4:5], s94, v4
	v_addc_co_u32_e64 v19, s[4:5], v13, v5, s[4:5]
	v_addc_co_u32_e32 v13, vcc, v15, v5, vcc
	v_addc_co_u32_e64 v15, vcc, v20, v5, s[2:3]
	s_addc_u32 s2, s89, s59
	s_add_u32 s80, s80, s54
	s_addc_u32 s81, s81, s55
	s_add_u32 s82, s82, s54
	;; [unrolled: 2-line block ×8, first 2 shown]
	v_cmp_eq_u64_e32 vcc, 0, v[10:11]
	s_addc_u32 s95, s95, s55
	v_mov_b32_e32 v21, s2
	v_add_co_u32_e64 v20, s[2:3], s6, v4
	s_or_b64 s[56:57], vcc, s[56:57]
	v_addc_co_u32_e64 v21, s[2:3], v21, v5, s[2:3]
	s_waitcnt vmcnt(3)
	v_cvt_f32_i32_e32 v3, v3
	s_waitcnt vmcnt(2)
	v_cvt_f32_i32_e32 v17, v17
	s_waitcnt vmcnt(1)
	v_cvt_f32_i32_e32 v22, v22
	s_waitcnt vmcnt(0)
	v_cvt_f32_i32_e32 v23, v23
	global_store_dword v[18:19], v3, off
	global_store_dword v[12:13], v17, off
	;; [unrolled: 1-line block ×4, first 2 shown]
	s_andn2_b64 exec, exec, s[56:57]
	s_cbranch_execnz .LBB2_10
; %bb.11:                               ;   in Loop: Header=BB2_3 Depth=1
	s_or_b64 exec, exec, s[56:57]
	v_cmp_ne_u64_e32 vcc, v[6:7], v[8:9]
	s_mov_b64 s[2:3], 0
                                        ; implicit-def: $vgpr10_vgpr11
                                        ; implicit-def: $vgpr12_vgpr13
	s_and_saveexec_b64 s[4:5], vcc
	s_xor_b64 s[4:5], exec, s[4:5]
; %bb.12:                               ;   in Loop: Header=BB2_3 Depth=1
	v_mad_u64_u32 v[10:11], s[6:7], v8, s8, v[0:1]
	v_mov_b32_e32 v6, v11
	v_mad_u64_u32 v[6:7], s[6:7], v9, s8, v[6:7]
	v_mov_b32_e32 v11, v6
	s_mov_b64 s[2:3], exec
	v_lshlrev_b64 v[12:13], 2, v[10:11]
; %bb.13:                               ;   in Loop: Header=BB2_3 Depth=1
	s_or_b64 exec, exec, s[4:5]
	s_and_b64 s[2:3], s[2:3], exec
.LBB2_14:                               ;   in Loop: Header=BB2_3 Depth=1
	s_or_saveexec_b64 s[4:5], s[48:49]
	v_pk_mov_b32 v[8:9], s[52:53], s[52:53] op_sel:[0,1]
	v_pk_mov_b32 v[6:7], s[50:51], s[50:51] op_sel:[0,1]
	;; [unrolled: 1-line block ×3, first 2 shown]
	s_xor_b64 exec, exec, s[4:5]
	s_cbranch_execz .LBB2_16
; %bb.15:                               ;   in Loop: Header=BB2_3 Depth=1
	s_add_i32 s6, s74, s73
	s_add_i32 s7, s6, s75
	;; [unrolled: 1-line block ×4, first 2 shown]
	s_add_u32 s6, s72, s79
	s_addc_u32 s7, s7, s46
	s_lshl_b64 s[46:47], s[8:9], 2
	s_add_u32 s48, s67, s65
	s_addc_u32 s49, s66, s64
	s_add_i32 s50, s69, s68
	s_add_i32 s50, s50, s70
	s_add_u32 s48, s48, s71
	s_addc_u32 s49, s49, s50
	v_pk_mov_b32 v[8:9], s[6:7], s[6:7] op_sel:[0,1]
	v_pk_mov_b32 v[6:7], s[46:47], s[46:47] op_sel:[0,1]
	;; [unrolled: 1-line block ×3, first 2 shown]
	s_or_b64 s[2:3], s[2:3], exec
	v_pk_mov_b32 v[10:11], v[0:1], v[0:1] op_sel:[0,1]
	v_pk_mov_b32 v[12:13], v[4:5], v[4:5] op_sel:[0,1]
.LBB2_16:                               ;   in Loop: Header=BB2_3 Depth=1
	s_or_b64 exec, exec, s[4:5]
	s_and_b64 exec, exec, s[2:3]
	s_cbranch_execz .LBB2_2
; %bb.17:                               ;   in Loop: Header=BB2_3 Depth=1
	v_add_co_u32_e32 v3, vcc, v8, v12
	v_addc_co_u32_e32 v8, vcc, v9, v13, vcc
	v_mov_b32_e32 v9, s63
	v_add_co_u32_e32 v3, vcc, s62, v3
	v_addc_co_u32_e32 v17, vcc, v9, v8, vcc
	v_add_co_u32_e32 v8, vcc, v14, v12
	v_addc_co_u32_e32 v9, vcc, v15, v13, vcc
	v_mov_b32_e32 v13, s37
	v_add_co_u32_e32 v12, vcc, s36, v8
	v_addc_co_u32_e32 v13, vcc, v13, v9, vcc
	s_mov_b64 s[2:3], 0
	v_pk_mov_b32 v[8:9], 0, 0
.LBB2_18:                               ;   Parent Loop BB2_3 Depth=1
                                        ; =>  This Inner Loop Header: Depth=2
	v_add_co_u32_e32 v14, vcc, v12, v8
	v_addc_co_u32_e32 v15, vcc, v13, v9, vcc
	global_load_dword v18, v[14:15], off
	v_add_co_u32_e32 v14, vcc, v3, v8
	v_addc_co_u32_e32 v15, vcc, v17, v9, vcc
	v_add_co_u32_e32 v8, vcc, v8, v6
	v_addc_co_u32_e32 v9, vcc, v9, v7, vcc
	v_mov_b32_e32 v19, s9
	v_add_co_u32_e32 v10, vcc, s8, v10
	v_addc_co_u32_e32 v11, vcc, v11, v19, vcc
	v_cmp_le_i64_e32 vcc, s[42:43], v[10:11]
	s_or_b64 s[2:3], vcc, s[2:3]
	s_waitcnt vmcnt(0)
	v_cvt_f32_i32_e32 v18, v18
	global_store_dword v[14:15], v18, off
	s_andn2_b64 exec, exec, s[2:3]
	s_cbranch_execnz .LBB2_18
	s_branch .LBB2_2
.LBB2_19:
	s_endpgm
	.section	.rodata,"a",@progbits
	.p2align	6, 0x0
	.amdhsa_kernel _ZL16k_get_rows_floatIifEvPKT_PKiPT0_ll15HIP_vector_typeIjLj3EEmmmmmmmmm
		.amdhsa_group_segment_fixed_size 0
		.amdhsa_private_segment_fixed_size 0
		.amdhsa_kernarg_size 384
		.amdhsa_user_sgpr_count 6
		.amdhsa_user_sgpr_private_segment_buffer 1
		.amdhsa_user_sgpr_dispatch_ptr 0
		.amdhsa_user_sgpr_queue_ptr 0
		.amdhsa_user_sgpr_kernarg_segment_ptr 1
		.amdhsa_user_sgpr_dispatch_id 0
		.amdhsa_user_sgpr_flat_scratch_init 0
		.amdhsa_user_sgpr_kernarg_preload_length 0
		.amdhsa_user_sgpr_kernarg_preload_offset 0
		.amdhsa_user_sgpr_private_segment_size 0
		.amdhsa_uses_dynamic_stack 0
		.amdhsa_system_sgpr_private_segment_wavefront_offset 0
		.amdhsa_system_sgpr_workgroup_id_x 1
		.amdhsa_system_sgpr_workgroup_id_y 1
		.amdhsa_system_sgpr_workgroup_id_z 1
		.amdhsa_system_sgpr_workgroup_info 0
		.amdhsa_system_vgpr_workitem_id 0
		.amdhsa_next_free_vgpr 24
		.amdhsa_next_free_sgpr 96
		.amdhsa_accum_offset 24
		.amdhsa_reserve_vcc 1
		.amdhsa_reserve_flat_scratch 0
		.amdhsa_float_round_mode_32 0
		.amdhsa_float_round_mode_16_64 0
		.amdhsa_float_denorm_mode_32 3
		.amdhsa_float_denorm_mode_16_64 3
		.amdhsa_dx10_clamp 1
		.amdhsa_ieee_mode 1
		.amdhsa_fp16_overflow 0
		.amdhsa_tg_split 0
		.amdhsa_exception_fp_ieee_invalid_op 0
		.amdhsa_exception_fp_denorm_src 0
		.amdhsa_exception_fp_ieee_div_zero 0
		.amdhsa_exception_fp_ieee_overflow 0
		.amdhsa_exception_fp_ieee_underflow 0
		.amdhsa_exception_fp_ieee_inexact 0
		.amdhsa_exception_int_div_zero 0
	.end_amdhsa_kernel
	.section	.text._ZL16k_get_rows_floatIifEvPKT_PKiPT0_ll15HIP_vector_typeIjLj3EEmmmmmmmmm,"axG",@progbits,_ZL16k_get_rows_floatIifEvPKT_PKiPT0_ll15HIP_vector_typeIjLj3EEmmmmmmmmm,comdat
.Lfunc_end2:
	.size	_ZL16k_get_rows_floatIifEvPKT_PKiPT0_ll15HIP_vector_typeIjLj3EEmmmmmmmmm, .Lfunc_end2-_ZL16k_get_rows_floatIifEvPKT_PKiPT0_ll15HIP_vector_typeIjLj3EEmmmmmmmmm
                                        ; -- End function
	.section	.AMDGPU.csdata,"",@progbits
; Kernel info:
; codeLenInByte = 2164
; NumSgprs: 100
; NumVgprs: 24
; NumAgprs: 0
; TotalNumVgprs: 24
; ScratchSize: 0
; MemoryBound: 0
; FloatMode: 240
; IeeeMode: 1
; LDSByteSize: 0 bytes/workgroup (compile time only)
; SGPRBlocks: 12
; VGPRBlocks: 2
; NumSGPRsForWavesPerEU: 100
; NumVGPRsForWavesPerEU: 24
; AccumOffset: 24
; Occupancy: 8
; WaveLimiterHint : 1
; COMPUTE_PGM_RSRC2:SCRATCH_EN: 0
; COMPUTE_PGM_RSRC2:USER_SGPR: 6
; COMPUTE_PGM_RSRC2:TRAP_HANDLER: 0
; COMPUTE_PGM_RSRC2:TGID_X_EN: 1
; COMPUTE_PGM_RSRC2:TGID_Y_EN: 1
; COMPUTE_PGM_RSRC2:TGID_Z_EN: 1
; COMPUTE_PGM_RSRC2:TIDIG_COMP_CNT: 0
; COMPUTE_PGM_RSRC3_GFX90A:ACCUM_OFFSET: 5
; COMPUTE_PGM_RSRC3_GFX90A:TG_SPLIT: 0
	.section	.text._ZL16k_get_rows_floatI14__hip_bfloat16fEvPKT_PKiPT0_ll15HIP_vector_typeIjLj3EEmmmmmmmmm,"axG",@progbits,_ZL16k_get_rows_floatI14__hip_bfloat16fEvPKT_PKiPT0_ll15HIP_vector_typeIjLj3EEmmmmmmmmm,comdat
	.globl	_ZL16k_get_rows_floatI14__hip_bfloat16fEvPKT_PKiPT0_ll15HIP_vector_typeIjLj3EEmmmmmmmmm ; -- Begin function _ZL16k_get_rows_floatI14__hip_bfloat16fEvPKT_PKiPT0_ll15HIP_vector_typeIjLj3EEmmmmmmmmm
	.p2align	8
	.type	_ZL16k_get_rows_floatI14__hip_bfloat16fEvPKT_PKiPT0_ll15HIP_vector_typeIjLj3EEmmmmmmmmm,@function
_ZL16k_get_rows_floatI14__hip_bfloat16fEvPKT_PKiPT0_ll15HIP_vector_typeIjLj3EEmmmmmmmmm: ; @_ZL16k_get_rows_floatI14__hip_bfloat16fEvPKT_PKiPT0_ll15HIP_vector_typeIjLj3EEmmmmmmmmm
; %bb.0:
	s_load_dwordx2 s[0:1], s[4:5], 0x20
	s_load_dwordx2 s[34:35], s[4:5], 0x2c
	s_mov_b32 s9, 0
	v_pk_mov_b32 v[2:3], s[8:9], s[8:9] op_sel:[0,1]
	s_waitcnt lgkmcnt(0)
	s_mul_i32 s1, s35, s1
	s_mul_hi_u32 s2, s35, s0
	s_add_i32 s45, s2, s1
	s_mul_i32 s44, s35, s0
	v_cmp_le_i64_e32 vcc, s[44:45], v[2:3]
	s_cbranch_vccnz .LBB3_19
; %bb.1:
	s_load_dwordx8 s[36:43], s[4:5], 0x0
	s_load_dwordx2 s[46:47], s[4:5], 0x78
	s_load_dwordx2 s[48:49], s[4:5], 0x88
	s_load_dword s33, s[4:5], 0x28
	s_load_dwordx16 s[16:31], s[4:5], 0x38
	s_add_u32 s50, s4, 0x80
	s_addc_u32 s51, s5, 0
	s_ashr_i32 s4, s6, 31
	s_waitcnt lgkmcnt(0)
	s_and_b32 s49, s49, 0xffff
	s_mul_i32 s2, s6, s29
	s_mul_hi_u32 s3, s6, s28
	s_add_i32 s2, s3, s2
	s_mul_i32 s3, s4, s28
	s_add_i32 s3, s2, s3
	s_mul_i32 s2, s6, s28
	s_lshl_b64 s[2:3], s[2:3], 2
	s_mul_i32 s7, s7, s49
	v_mov_b32_e32 v2, 0
	s_add_u32 s74, s38, s2
	v_add_u32_e32 v0, s7, v0
	v_mov_b32_e32 v1, v2
	s_addc_u32 s75, s39, s3
	s_mul_i32 s3, s6, s17
	s_mul_i32 s4, s4, s16
	s_mul_hi_u32 s2, s6, s16
	s_add_i32 s7, s3, s4
	v_lshlrev_b64 v[4:5], 1, v[0:1]
	s_add_i32 s3, s7, s2
	s_mul_i32 s2, s6, s16
	v_mov_b32_e32 v3, s37
	v_add_co_u32_e32 v28, vcc, s36, v4
	v_addc_co_u32_e32 v29, vcc, v3, v5, vcc
	v_mov_b32_e32 v3, s16
	s_lshl_b64 s[2:3], s[2:3], 2
	v_lshlrev_b64 v[8:9], 2, v[0:1]
	s_lshl_b64 s[28:29], s[18:19], 2
	s_lshl_b64 s[38:39], s[20:21], 2
	v_mad_u64_u32 v[6:7], s[4:5], s6, v3, v[0:1]
	v_mov_b32_e32 v3, s3
	v_add_co_u32_e32 v10, vcc, s2, v8
	s_add_u32 s76, s40, s2
	v_cmp_gt_i64_e64 s[0:1], s[42:43], v[0:1]
	v_add_u32_e32 v7, s7, v7
	v_addc_co_u32_e32 v11, vcc, v3, v9, vcc
	s_addc_u32 s77, s41, s3
	v_mov_b32_e32 v30, 0x4f800000
	s_mov_b64 s[52:53], s[8:9]
	s_branch .LBB3_3
.LBB3_2:                                ;   in Loop: Header=BB3_3 Depth=1
	s_or_b64 exec, exec, s[54:55]
	s_add_u32 s52, s52, s48
	s_addc_u32 s53, s53, 0
	v_pk_mov_b32 v[12:13], s[44:45], s[44:45] op_sel:[0,1]
	v_cmp_lt_i64_e32 vcc, s[52:53], v[12:13]
	s_cbranch_vccz .LBB3_19
.LBB3_3:                                ; =>This Loop Header: Depth=1
                                        ;     Child Loop BB3_10 Depth 2
                                        ;     Child Loop BB3_18 Depth 2
	s_and_saveexec_b64 s[54:55], s[0:1]
	s_cbranch_execz .LBB3_2
; %bb.4:                                ;   in Loop: Header=BB3_3 Depth=1
	s_mul_hi_u32 s2, s52, s33
	s_add_i32 s2, s2, s52
	s_lshr_b32 s12, s2, s34
	s_mul_i32 s2, s12, s35
	s_sub_i32 s13, s52, s2
	s_ashr_i32 s14, s12, 31
	s_mul_i32 s2, s12, s31
	s_mul_hi_u32 s3, s12, s30
	s_load_dword s8, s[50:51], 0x4
	s_add_i32 s2, s3, s2
	s_mul_i32 s3, s14, s30
	s_ashr_i32 s15, s13, 31
	s_mul_i32 s4, s13, s47
	s_mul_hi_u32 s5, s13, s46
	s_add_i32 s3, s2, s3
	s_mul_i32 s2, s12, s30
	s_add_i32 s4, s5, s4
	s_mul_i32 s5, s15, s46
	s_add_i32 s5, s4, s5
	s_lshl_b64 s[2:3], s[2:3], 2
	s_mul_i32 s4, s13, s46
	s_add_u32 s6, s74, s2
	s_addc_u32 s7, s75, s3
	s_lshl_b64 s[2:3], s[4:5], 2
	s_waitcnt lgkmcnt(0)
	s_mul_i32 s8, s8, s49
	s_add_u32 s6, s6, s2
	v_add_co_u32_e32 v12, vcc, s8, v0
	s_addc_u32 s7, s7, s3
	v_addc_co_u32_e64 v13, s[2:3], 0, 0, vcc
	v_cmp_gt_i64_e64 s[2:3], s[42:43], v[12:13]
	v_mov_b32_e32 v14, s42
	v_mov_b32_e32 v3, s43
	v_cndmask_b32_e64 v14, v12, v14, s[2:3]
	v_cndmask_b32_e64 v15, 0, 1, s[2:3]
	;; [unrolled: 1-line block ×3, first 2 shown]
	v_sub_co_u32_e32 v14, vcc, v14, v15
	v_subbrev_co_u32_e32 v3, vcc, 0, v3, vcc
	v_sub_co_u32_e32 v14, vcc, v14, v12
	v_subb_co_u32_e32 v3, vcc, v3, v13, vcc
	v_cmp_ne_u64_e32 vcc, 0, v[2:3]
                                        ; implicit-def: $vgpr12_vgpr13
	s_and_saveexec_b64 s[4:5], vcc
	s_xor_b64 s[10:11], exec, s[4:5]
	s_cbranch_execz .LBB3_6
; %bb.5:                                ;   in Loop: Header=BB3_3 Depth=1
	v_cvt_f32_u32_e32 v12, s8
	s_sub_u32 s4, 0, s8
	s_subb_u32 s5, 0, 0
	v_mac_f32_e32 v12, 0, v30
	v_rcp_f32_e32 v12, v12
	v_mul_f32_e32 v12, 0x5f7ffffc, v12
	v_mul_f32_e32 v13, 0x2f800000, v12
	v_trunc_f32_e32 v13, v13
	v_mac_f32_e32 v12, 0xcf800000, v13
	v_cvt_u32_f32_e32 v13, v13
	v_cvt_u32_f32_e32 v12, v12
	v_mul_lo_u32 v15, s4, v13
	v_mul_hi_u32 v17, s4, v12
	v_mul_lo_u32 v16, s5, v12
	v_add_u32_e32 v15, v17, v15
	v_mul_lo_u32 v18, s4, v12
	v_add_u32_e32 v15, v15, v16
	v_mul_hi_u32 v17, v12, v18
	v_mul_lo_u32 v19, v12, v15
	v_mul_hi_u32 v16, v12, v15
	v_add_co_u32_e32 v17, vcc, v17, v19
	v_addc_co_u32_e32 v16, vcc, 0, v16, vcc
	v_mul_hi_u32 v20, v13, v18
	v_mul_lo_u32 v18, v13, v18
	v_add_co_u32_e32 v17, vcc, v17, v18
	v_mul_hi_u32 v19, v13, v15
	v_addc_co_u32_e32 v16, vcc, v16, v20, vcc
	v_addc_co_u32_e32 v17, vcc, 0, v19, vcc
	v_mul_lo_u32 v15, v13, v15
	v_add_co_u32_e32 v15, vcc, v16, v15
	v_addc_co_u32_e32 v16, vcc, 0, v17, vcc
	v_add_co_u32_e32 v12, vcc, v12, v15
	v_addc_co_u32_e32 v13, vcc, v13, v16, vcc
	v_mul_lo_u32 v15, s4, v13
	v_mul_hi_u32 v16, s4, v12
	v_add_u32_e32 v15, v16, v15
	v_mul_lo_u32 v16, s5, v12
	v_add_u32_e32 v15, v15, v16
	v_mul_lo_u32 v17, s4, v12
	v_mul_hi_u32 v18, v13, v17
	v_mul_lo_u32 v19, v13, v17
	v_mul_lo_u32 v21, v12, v15
	v_mul_hi_u32 v17, v12, v17
	v_mul_hi_u32 v20, v12, v15
	v_add_co_u32_e32 v17, vcc, v17, v21
	v_addc_co_u32_e32 v20, vcc, 0, v20, vcc
	v_add_co_u32_e32 v17, vcc, v17, v19
	v_mul_hi_u32 v16, v13, v15
	v_addc_co_u32_e32 v17, vcc, v20, v18, vcc
	v_addc_co_u32_e32 v16, vcc, 0, v16, vcc
	v_mul_lo_u32 v15, v13, v15
	v_add_co_u32_e32 v15, vcc, v17, v15
	v_addc_co_u32_e32 v16, vcc, 0, v16, vcc
	v_add_co_u32_e32 v15, vcc, v12, v15
	v_addc_co_u32_e32 v16, vcc, v13, v16, vcc
	v_mad_u64_u32 v[12:13], s[4:5], v14, v16, 0
	v_mul_hi_u32 v17, v14, v15
	v_add_co_u32_e32 v18, vcc, v17, v12
	v_addc_co_u32_e32 v19, vcc, 0, v13, vcc
	v_mad_u64_u32 v[12:13], s[4:5], v3, v16, 0
	v_mad_u64_u32 v[16:17], s[4:5], v3, v15, 0
	v_add_co_u32_e32 v15, vcc, v18, v16
	v_addc_co_u32_e32 v15, vcc, v19, v17, vcc
	v_addc_co_u32_e32 v13, vcc, 0, v13, vcc
	v_add_co_u32_e32 v15, vcc, v15, v12
	v_addc_co_u32_e32 v18, vcc, 0, v13, vcc
	v_mad_u64_u32 v[12:13], s[4:5], s8, v15, 0
	v_mov_b32_e32 v16, v13
	v_mad_u64_u32 v[16:17], s[4:5], s8, v18, v[16:17]
	v_sub_co_u32_e32 v12, vcc, v14, v12
	v_subb_co_u32_e32 v3, vcc, v3, v16, vcc
	v_subrev_co_u32_e32 v13, vcc, s8, v12
	v_subbrev_co_u32_e32 v14, vcc, 0, v3, vcc
	v_cmp_le_u32_e32 vcc, s8, v13
	v_cndmask_b32_e64 v13, 0, -1, vcc
	v_cmp_eq_u32_e32 vcc, 0, v14
	v_cndmask_b32_e32 v13, -1, v13, vcc
	v_add_co_u32_e32 v14, vcc, 2, v15
	v_addc_co_u32_e32 v16, vcc, 0, v18, vcc
	v_add_co_u32_e32 v17, vcc, 1, v15
	v_cmp_le_u32_e64 s[4:5], s8, v12
	v_addc_co_u32_e32 v19, vcc, 0, v18, vcc
	v_cndmask_b32_e64 v12, 0, -1, s[4:5]
	v_cmp_eq_u32_e64 s[4:5], 0, v3
	v_cmp_ne_u32_e32 vcc, 0, v13
	v_cndmask_b32_e64 v3, -1, v12, s[4:5]
	v_cndmask_b32_e32 v13, v19, v16, vcc
	v_cmp_ne_u32_e64 s[4:5], 0, v3
	v_cndmask_b32_e32 v3, v17, v14, vcc
	v_cndmask_b32_e64 v13, v18, v13, s[4:5]
	v_cndmask_b32_e64 v12, v15, v3, s[4:5]
                                        ; implicit-def: $vgpr14
.LBB3_6:                                ;   in Loop: Header=BB3_3 Depth=1
	s_or_saveexec_b64 s[4:5], s[10:11]
	s_load_dword s79, s[6:7], 0x0
	s_xor_b64 exec, exec, s[4:5]
	s_cbranch_execz .LBB3_8
; %bb.7:                                ;   in Loop: Header=BB3_3 Depth=1
	v_cvt_f32_u32_e32 v3, s8
	s_sub_i32 s6, 0, s8
	v_rcp_iflag_f32_e32 v3, v3
	v_mul_f32_e32 v3, 0x4f7ffffe, v3
	v_cvt_u32_f32_e32 v3, v3
	v_mul_lo_u32 v12, s6, v3
	v_mul_hi_u32 v12, v3, v12
	v_add_u32_e32 v3, v3, v12
	v_mul_hi_u32 v3, v14, v3
	v_mul_lo_u32 v12, v3, s8
	v_sub_u32_e32 v12, v14, v12
	v_add_u32_e32 v13, 1, v3
	v_subrev_u32_e32 v14, s8, v12
	v_cmp_le_u32_e32 vcc, s8, v12
	v_cndmask_b32_e32 v12, v12, v14, vcc
	v_cndmask_b32_e32 v3, v3, v13, vcc
	v_add_u32_e32 v13, 1, v3
	v_cmp_le_u32_e32 vcc, s8, v12
	v_cndmask_b32_e32 v12, v3, v13, vcc
	v_mov_b32_e32 v13, v2
.LBB3_8:                                ;   in Loop: Header=BB3_3 Depth=1
	s_or_b64 exec, exec, s[4:5]
	s_waitcnt lgkmcnt(0)
	s_ashr_i32 s4, s79, 31
	s_mul_i32 s5, s79, s23
	s_mul_hi_u32 s6, s79, s22
	s_add_i32 s78, s6, s5
	s_mul_i32 s4, s4, s22
	v_cndmask_b32_e64 v3, 1, 2, s[2:3]
	s_add_i32 s78, s78, s4
	s_mul_i32 s4, s12, s25
	s_mul_hi_u32 s5, s12, s24
	v_add_co_u32_e32 v12, vcc, v3, v12
	s_add_i32 s80, s5, s4
	s_mul_i32 s4, s14, s24
	v_addc_co_u32_e32 v13, vcc, 0, v13, vcc
	s_mul_i32 s79, s79, s22
	s_add_i32 s80, s80, s4
	s_mul_i32 s81, s12, s24
	v_cmp_lt_u64_e32 vcc, 3, v[12:13]
	s_mov_b64 s[2:3], 0
	s_mul_i32 s82, s26, s15
	s_mul_hi_u32 s83, s26, s13
	s_mul_i32 s84, s27, s13
	s_mul_i32 s85, s26, s13
	s_mul_hi_u32 s86, s28, s12
	s_mul_i32 s87, s29, s12
	s_mul_i32 s90, s28, s14
	;; [unrolled: 1-line block ×3, first 2 shown]
	s_mul_hi_u32 s88, s38, s13
	s_mul_i32 s89, s39, s13
	s_mul_i32 s91, s38, s15
	;; [unrolled: 1-line block ×3, first 2 shown]
                                        ; implicit-def: $vgpr16_vgpr17
                                        ; implicit-def: $vgpr18_vgpr19
                                        ; implicit-def: $sgpr66_sgpr67
                                        ; implicit-def: $sgpr60_sgpr61
                                        ; implicit-def: $vgpr20_vgpr21
                                        ; implicit-def: $sgpr62_sgpr63
	s_and_saveexec_b64 s[4:5], vcc
	s_xor_b64 s[64:65], exec, s[4:5]
	s_cbranch_execz .LBB3_14
; %bb.9:                                ;   in Loop: Header=BB3_3 Depth=1
	s_add_u32 s2, s81, s79
	s_addc_u32 s3, s80, s78
	s_add_i32 s4, s83, s82
	s_add_i32 s4, s4, s84
	s_add_u32 s60, s2, s85
	s_addc_u32 s61, s3, s4
	v_mov_b32_e32 v3, s61
	v_add_co_u32_e32 v16, vcc, s60, v28
	v_addc_co_u32_e32 v17, vcc, v29, v3, vcc
	s_mul_i32 s2, s14, s18
	s_mul_i32 s3, s12, s19
	v_mov_b32_e32 v3, s18
	s_add_i32 s4, s3, s2
	v_mad_u64_u32 v[18:19], s[2:3], s12, v3, v[6:7]
	v_add_u32_e32 v19, s4, v19
	v_mov_b32_e32 v3, s13
	v_mad_u64_u32 v[18:19], s[2:3], s20, v3, v[18:19]
	s_mul_i32 s2, s21, s13
	s_mul_i32 s3, s20, s15
	s_add_i32 s3, s3, s2
	v_mov_b32_e32 v20, s12
	v_add_u32_e32 v19, s3, v19
	s_add_i32 s4, s90, s87
	v_mad_u64_u32 v[20:21], s[2:3], s28, v20, v[10:11]
	v_add_u32_e32 v21, s4, v21
	s_lshl_b64 s[68:69], s[8:9], 3
	s_add_i32 s57, s4, s86
	s_add_i32 s4, s91, s89
	v_mad_u64_u32 v[20:21], s[2:3], s38, v3, v[20:21]
	v_add_u32_e32 v21, s4, v21
	v_mov_b32_e32 v3, s69
	v_add_co_u32_e32 v22, vcc, s68, v20
	s_lshl_b64 s[66:67], s[8:9], 2
	v_addc_co_u32_e32 v3, vcc, v21, v3, vcc
	v_and_b32_e32 v14, -4, v12
	v_mov_b32_e32 v15, v13
	v_lshlrev_b64 v[18:19], 2, v[18:19]
	v_mov_b32_e32 v23, s67
	v_add_co_u32_e32 v24, vcc, s66, v20
	s_mul_hi_u32 s92, s8, 6
	s_mul_i32 s93, s8, 6
	s_lshl_b64 s[62:63], s[8:9], 1
	v_mad_u64_u32 v[18:19], s[2:3], s8, 12, v[18:19]
	s_lshl_b64 s[70:71], s[8:9], 4
	s_add_i32 s59, s4, s88
	v_addc_co_u32_e32 v23, vcc, v21, v23, vcc
	s_mov_b64 s[72:73], 0
	v_pk_mov_b32 v[26:27], v[14:15], v[14:15] op_sel:[0,1]
.LBB3_10:                               ;   Parent Loop BB3_3 Depth=1
                                        ; =>  This Inner Loop Header: Depth=2
	v_mov_b32_e32 v25, s63
	v_add_co_u32_e64 v36, s[4:5], s62, v16
	v_mov_b32_e32 v31, s67
	v_add_co_u32_e32 v32, vcc, s66, v16
	v_mov_b32_e32 v35, s92
	v_add_co_u32_e64 v34, s[2:3], s93, v16
	global_load_ushort v40, v[16:17], off
	v_addc_co_u32_e64 v37, s[4:5], v17, v25, s[4:5]
	v_addc_co_u32_e32 v33, vcc, v17, v31, vcc
	v_addc_co_u32_e64 v35, vcc, v17, v35, s[2:3]
	global_load_ushort v25, v[36:37], off
	global_load_ushort v31, v[34:35], off
	;; [unrolled: 1-line block ×3, first 2 shown]
	v_add_co_u32_e64 v26, s[6:7], -4, v26
	v_addc_co_u32_e64 v27, s[6:7], -1, v27, s[6:7]
	v_mov_b32_e32 v37, s41
	v_add_co_u32_e32 v32, vcc, s40, v24
	v_add_co_u32_e64 v34, s[2:3], s40, v22
	v_add_co_u32_e64 v36, s[4:5], s40, v18
	v_mov_b32_e32 v43, s71
	v_add_co_u32_e64 v18, s[6:7], s70, v18
	v_add_co_u32_e64 v22, s[10:11], s70, v22
	;; [unrolled: 1-line block ×5, first 2 shown]
	v_addc_co_u32_e64 v39, s[14:15], v37, v21, s[14:15]
	v_addc_co_u32_e32 v33, vcc, v37, v23, vcc
	v_addc_co_u32_e64 v35, vcc, v37, v3, s[2:3]
	v_addc_co_u32_e64 v37, vcc, v37, v19, s[4:5]
	v_addc_co_u32_e64 v19, vcc, v19, v43, s[6:7]
	v_addc_co_u32_e64 v3, vcc, v3, v43, s[10:11]
	v_addc_co_u32_e64 v23, vcc, v23, v43, s[12:13]
	v_addc_co_u32_e64 v21, vcc, v21, v43, s[16:17]
	v_mov_b32_e32 v42, s69
	v_cmp_eq_u64_e32 vcc, 0, v[26:27]
	v_add_co_u32_e64 v16, s[2:3], s68, v16
	v_addc_co_u32_e64 v17, s[2:3], v17, v42, s[2:3]
	s_or_b64 s[72:73], vcc, s[72:73]
	s_waitcnt vmcnt(3)
	v_lshlrev_b32_e32 v40, 16, v40
	global_store_dword v[38:39], v40, off
	s_waitcnt vmcnt(3)
	v_lshlrev_b32_e32 v25, 16, v25
	s_waitcnt vmcnt(2)
	v_lshlrev_b32_e32 v31, 16, v31
	;; [unrolled: 2-line block ×3, first 2 shown]
	global_store_dword v[32:33], v25, off
	global_store_dword v[34:35], v38, off
	;; [unrolled: 1-line block ×3, first 2 shown]
	s_andn2_b64 exec, exec, s[72:73]
	s_cbranch_execnz .LBB3_10
; %bb.11:                               ;   in Loop: Header=BB3_3 Depth=1
	s_or_b64 exec, exec, s[72:73]
	v_cmp_ne_u64_e32 vcc, v[12:13], v[14:15]
	s_mov_b64 s[2:3], 0
                                        ; implicit-def: $vgpr16_vgpr17
                                        ; implicit-def: $vgpr18_vgpr19
                                        ; implicit-def: $vgpr20_vgpr21
	s_and_saveexec_b64 s[4:5], vcc
	s_xor_b64 s[4:5], exec, s[4:5]
; %bb.12:                               ;   in Loop: Header=BB3_3 Depth=1
	v_mad_u64_u32 v[16:17], s[6:7], v14, s8, v[0:1]
	v_mov_b32_e32 v12, v17
	v_mad_u64_u32 v[12:13], s[6:7], v15, s8, v[12:13]
	v_mov_b32_e32 v17, v12
	s_mov_b64 s[2:3], exec
	v_lshlrev_b64 v[18:19], 2, v[16:17]
	v_lshlrev_b64 v[20:21], 1, v[16:17]
; %bb.13:                               ;   in Loop: Header=BB3_3 Depth=1
	s_or_b64 exec, exec, s[4:5]
	s_and_b64 s[2:3], s[2:3], exec
.LBB3_14:                               ;   in Loop: Header=BB3_3 Depth=1
	s_or_saveexec_b64 s[4:5], s[64:65]
	v_pk_mov_b32 v[24:25], s[56:57], s[56:57] op_sel:[0,1]
	v_pk_mov_b32 v[26:27], s[58:59], s[58:59] op_sel:[0,1]
	;; [unrolled: 1-line block ×5, first 2 shown]
	s_xor_b64 exec, exec, s[4:5]
	s_cbranch_execz .LBB3_16
; %bb.15:                               ;   in Loop: Header=BB3_3 Depth=1
	s_add_i32 s6, s86, s90
	s_add_i32 s57, s6, s87
	;; [unrolled: 1-line block ×4, first 2 shown]
	s_lshl_b64 s[6:7], s[8:9], 2
	s_add_u32 s10, s81, s79
	s_addc_u32 s11, s80, s78
	s_add_i32 s12, s83, s82
	s_add_i32 s12, s12, s84
	s_add_u32 s10, s10, s85
	s_addc_u32 s11, s11, s12
	s_lshl_b64 s[12:13], s[8:9], 1
	v_pk_mov_b32 v[24:25], s[56:57], s[56:57] op_sel:[0,1]
	v_pk_mov_b32 v[26:27], s[58:59], s[58:59] op_sel:[0,1]
	;; [unrolled: 1-line block ×5, first 2 shown]
	s_or_b64 s[2:3], s[2:3], exec
	v_pk_mov_b32 v[16:17], v[0:1], v[0:1] op_sel:[0,1]
	v_pk_mov_b32 v[18:19], v[8:9], v[8:9] op_sel:[0,1]
	;; [unrolled: 1-line block ×3, first 2 shown]
.LBB3_16:                               ;   in Loop: Header=BB3_3 Depth=1
	s_or_b64 exec, exec, s[4:5]
	s_and_b64 exec, exec, s[2:3]
	s_cbranch_execz .LBB3_2
; %bb.17:                               ;   in Loop: Header=BB3_3 Depth=1
	v_add_co_u32_e32 v3, vcc, v24, v26
	v_addc_co_u32_e32 v24, vcc, v25, v27, vcc
	v_add_co_u32_e32 v3, vcc, v3, v18
	v_addc_co_u32_e32 v19, vcc, v24, v19, vcc
	v_mov_b32_e32 v24, s77
	v_add_co_u32_e32 v18, vcc, s76, v3
	v_addc_co_u32_e32 v19, vcc, v24, v19, vcc
	v_add_co_u32_e32 v3, vcc, v22, v20
	v_addc_co_u32_e32 v21, vcc, v23, v21, vcc
	v_mov_b32_e32 v22, s37
	v_add_co_u32_e32 v20, vcc, s36, v3
	v_addc_co_u32_e32 v21, vcc, v22, v21, vcc
	s_mov_b64 s[2:3], 0
.LBB3_18:                               ;   Parent Loop BB3_3 Depth=1
                                        ; =>  This Inner Loop Header: Depth=2
	global_load_ushort v3, v[20:21], off
	v_add_co_u32_e32 v20, vcc, v20, v14
	v_addc_co_u32_e32 v21, vcc, v21, v15, vcc
	v_mov_b32_e32 v22, s9
	v_add_co_u32_e32 v16, vcc, s8, v16
	v_addc_co_u32_e32 v17, vcc, v17, v22, vcc
	v_cmp_le_i64_e32 vcc, s[42:43], v[16:17]
	s_or_b64 s[2:3], vcc, s[2:3]
	s_waitcnt vmcnt(0)
	v_lshlrev_b32_e32 v3, 16, v3
	global_store_dword v[18:19], v3, off
	v_add_co_u32_e32 v18, vcc, v18, v12
	v_addc_co_u32_e32 v19, vcc, v19, v13, vcc
	s_andn2_b64 exec, exec, s[2:3]
	s_cbranch_execnz .LBB3_18
	s_branch .LBB3_2
.LBB3_19:
	s_endpgm
	.section	.rodata,"a",@progbits
	.p2align	6, 0x0
	.amdhsa_kernel _ZL16k_get_rows_floatI14__hip_bfloat16fEvPKT_PKiPT0_ll15HIP_vector_typeIjLj3EEmmmmmmmmm
		.amdhsa_group_segment_fixed_size 0
		.amdhsa_private_segment_fixed_size 0
		.amdhsa_kernarg_size 384
		.amdhsa_user_sgpr_count 6
		.amdhsa_user_sgpr_private_segment_buffer 1
		.amdhsa_user_sgpr_dispatch_ptr 0
		.amdhsa_user_sgpr_queue_ptr 0
		.amdhsa_user_sgpr_kernarg_segment_ptr 1
		.amdhsa_user_sgpr_dispatch_id 0
		.amdhsa_user_sgpr_flat_scratch_init 0
		.amdhsa_user_sgpr_kernarg_preload_length 0
		.amdhsa_user_sgpr_kernarg_preload_offset 0
		.amdhsa_user_sgpr_private_segment_size 0
		.amdhsa_uses_dynamic_stack 0
		.amdhsa_system_sgpr_private_segment_wavefront_offset 0
		.amdhsa_system_sgpr_workgroup_id_x 1
		.amdhsa_system_sgpr_workgroup_id_y 1
		.amdhsa_system_sgpr_workgroup_id_z 1
		.amdhsa_system_sgpr_workgroup_info 0
		.amdhsa_system_vgpr_workitem_id 0
		.amdhsa_next_free_vgpr 44
		.amdhsa_next_free_sgpr 94
		.amdhsa_accum_offset 44
		.amdhsa_reserve_vcc 1
		.amdhsa_reserve_flat_scratch 0
		.amdhsa_float_round_mode_32 0
		.amdhsa_float_round_mode_16_64 0
		.amdhsa_float_denorm_mode_32 3
		.amdhsa_float_denorm_mode_16_64 3
		.amdhsa_dx10_clamp 1
		.amdhsa_ieee_mode 1
		.amdhsa_fp16_overflow 0
		.amdhsa_tg_split 0
		.amdhsa_exception_fp_ieee_invalid_op 0
		.amdhsa_exception_fp_denorm_src 0
		.amdhsa_exception_fp_ieee_div_zero 0
		.amdhsa_exception_fp_ieee_overflow 0
		.amdhsa_exception_fp_ieee_underflow 0
		.amdhsa_exception_fp_ieee_inexact 0
		.amdhsa_exception_int_div_zero 0
	.end_amdhsa_kernel
	.section	.text._ZL16k_get_rows_floatI14__hip_bfloat16fEvPKT_PKiPT0_ll15HIP_vector_typeIjLj3EEmmmmmmmmm,"axG",@progbits,_ZL16k_get_rows_floatI14__hip_bfloat16fEvPKT_PKiPT0_ll15HIP_vector_typeIjLj3EEmmmmmmmmm,comdat
.Lfunc_end3:
	.size	_ZL16k_get_rows_floatI14__hip_bfloat16fEvPKT_PKiPT0_ll15HIP_vector_typeIjLj3EEmmmmmmmmm, .Lfunc_end3-_ZL16k_get_rows_floatI14__hip_bfloat16fEvPKT_PKiPT0_ll15HIP_vector_typeIjLj3EEmmmmmmmmm
                                        ; -- End function
	.section	.AMDGPU.csdata,"",@progbits
; Kernel info:
; codeLenInByte = 2248
; NumSgprs: 98
; NumVgprs: 44
; NumAgprs: 0
; TotalNumVgprs: 44
; ScratchSize: 0
; MemoryBound: 0
; FloatMode: 240
; IeeeMode: 1
; LDSByteSize: 0 bytes/workgroup (compile time only)
; SGPRBlocks: 12
; VGPRBlocks: 5
; NumSGPRsForWavesPerEU: 98
; NumVGPRsForWavesPerEU: 44
; AccumOffset: 44
; Occupancy: 8
; WaveLimiterHint : 1
; COMPUTE_PGM_RSRC2:SCRATCH_EN: 0
; COMPUTE_PGM_RSRC2:USER_SGPR: 6
; COMPUTE_PGM_RSRC2:TRAP_HANDLER: 0
; COMPUTE_PGM_RSRC2:TGID_X_EN: 1
; COMPUTE_PGM_RSRC2:TGID_Y_EN: 1
; COMPUTE_PGM_RSRC2:TGID_Z_EN: 1
; COMPUTE_PGM_RSRC2:TIDIG_COMP_CNT: 0
; COMPUTE_PGM_RSRC3_GFX90A:ACCUM_OFFSET: 10
; COMPUTE_PGM_RSRC3_GFX90A:TG_SPLIT: 0
	.section	.text._ZL10k_get_rowsILi128ELi1EXadL_ZL15dequantize_q1_0PKvliR15HIP_vector_typeIfLj2EEEEfEvS1_PKiPT2_llS2_IjLj3EEmmmmmmmmm,"axG",@progbits,_ZL10k_get_rowsILi128ELi1EXadL_ZL15dequantize_q1_0PKvliR15HIP_vector_typeIfLj2EEEEfEvS1_PKiPT2_llS2_IjLj3EEmmmmmmmmm,comdat
	.globl	_ZL10k_get_rowsILi128ELi1EXadL_ZL15dequantize_q1_0PKvliR15HIP_vector_typeIfLj2EEEEfEvS1_PKiPT2_llS2_IjLj3EEmmmmmmmmm ; -- Begin function _ZL10k_get_rowsILi128ELi1EXadL_ZL15dequantize_q1_0PKvliR15HIP_vector_typeIfLj2EEEEfEvS1_PKiPT2_llS2_IjLj3EEmmmmmmmmm
	.p2align	8
	.type	_ZL10k_get_rowsILi128ELi1EXadL_ZL15dequantize_q1_0PKvliR15HIP_vector_typeIfLj2EEEEfEvS1_PKiPT2_llS2_IjLj3EEmmmmmmmmm,@function
_ZL10k_get_rowsILi128ELi1EXadL_ZL15dequantize_q1_0PKvliR15HIP_vector_typeIfLj2EEEEfEvS1_PKiPT2_llS2_IjLj3EEmmmmmmmmm: ; @_ZL10k_get_rowsILi128ELi1EXadL_ZL15dequantize_q1_0PKvliR15HIP_vector_typeIfLj2EEEEfEvS1_PKiPT2_llS2_IjLj3EEmmmmmmmmm
; %bb.0:
	s_load_dwordx4 s[28:31], s[4:5], 0x18
	s_load_dwordx2 s[2:3], s[4:5], 0x2c
	s_mov_b32 s9, 0
	v_pk_mov_b32 v[2:3], s[8:9], s[8:9] op_sel:[0,1]
	s_waitcnt lgkmcnt(0)
	s_mul_i32 s0, s3, s31
	s_mul_hi_u32 s1, s3, s30
	s_add_i32 s35, s1, s0
	s_mul_i32 s34, s3, s30
	v_cmp_le_i64_e32 vcc, s[34:35], v[2:3]
	s_cbranch_vccnz .LBB4_6
; %bb.1:
	s_load_dwordx4 s[36:39], s[4:5], 0x0
	s_load_dwordx2 s[42:43], s[4:5], 0x10
	s_load_dwordx2 s[10:11], s[4:5], 0x78
	;; [unrolled: 1-line block ×3, first 2 shown]
	s_load_dword s33, s[4:5], 0x28
	s_load_dwordx16 s[12:27], s[4:5], 0x38
	s_add_u32 s4, s4, 0x80
	s_addc_u32 s5, s5, 0
	s_waitcnt lgkmcnt(0)
	s_and_b32 s31, s31, 0xffff
	s_mul_i32 s7, s7, s31
	v_add_lshl_u32 v0, s7, v0, 1
	s_ashr_i32 s7, s6, 31
	s_mul_i32 s25, s6, s25
	s_mul_hi_u32 s40, s6, s24
	s_add_i32 s25, s40, s25
	s_mul_i32 s40, s7, s24
	s_add_i32 s25, s25, s40
	s_mul_i32 s24, s6, s24
	s_lshl_b64 s[24:25], s[24:25], 2
	s_add_u32 s40, s38, s24
	s_mul_i32 s13, s6, s13
	s_mul_hi_u32 s24, s6, s12
	s_addc_u32 s41, s39, s25
	s_add_i32 s13, s24, s13
	s_mul_i32 s7, s7, s12
	s_add_i32 s7, s13, s7
	s_mul_i32 s6, s6, s12
	s_lshl_b64 s[6:7], s[6:7], 2
	v_mov_b32_e32 v1, 0
	s_add_u32 s42, s42, s6
	v_cmp_gt_i64_e64 s[0:1], s[28:29], v[0:1]
	s_addc_u32 s43, s43, s7
	v_lshlrev_b64 v[2:3], 25, v[0:1]
	v_mov_b32_e32 v4, v1
	v_mov_b32_e32 v5, v0
	s_mov_b32 s44, 0x5040100
	v_pk_mov_b32 v[6:7], s[34:35], s[34:35] op_sel:[0,1]
	s_mov_b64 s[6:7], s[8:9]
	s_branch .LBB4_3
.LBB4_2:                                ;   in Loop: Header=BB4_3 Depth=1
	s_or_b64 exec, exec, s[12:13]
	s_add_u32 s6, s6, s30
	s_addc_u32 s7, s7, 0
	v_cmp_ge_i64_e32 vcc, s[6:7], v[6:7]
	s_cbranch_vccnz .LBB4_6
.LBB4_3:                                ; =>This Loop Header: Depth=1
                                        ;     Child Loop BB4_5 Depth 2
	s_and_saveexec_b64 s[12:13], s[0:1]
	s_cbranch_execz .LBB4_2
; %bb.4:                                ;   in Loop: Header=BB4_3 Depth=1
	s_mul_hi_u32 s8, s6, s33
	s_add_i32 s8, s8, s6
	s_lshr_b32 s8, s8, s2
	s_mul_i32 s24, s8, s3
	s_sub_i32 s38, s6, s24
	s_ashr_i32 s39, s8, 31
	s_mul_i32 s24, s8, s27
	s_mul_hi_u32 s25, s8, s26
	s_add_i32 s24, s25, s24
	s_mul_i32 s25, s39, s26
	s_ashr_i32 s46, s38, 31
	s_mul_i32 s34, s38, s11
	s_mul_hi_u32 s35, s38, s10
	s_add_i32 s25, s24, s25
	s_mul_i32 s24, s8, s26
	s_add_i32 s34, s35, s34
	s_mul_i32 s35, s46, s10
	s_add_i32 s35, s34, s35
	s_lshl_b64 s[24:25], s[24:25], 2
	s_mul_i32 s34, s38, s10
	s_add_u32 s45, s40, s24
	s_addc_u32 s47, s41, s25
	s_lshl_b64 s[24:25], s[34:35], 2
	s_add_u32 s24, s45, s24
	s_addc_u32 s25, s47, s25
	s_load_dword s34, s[24:25], 0x0
	s_mul_i32 s24, s8, s15
	s_mul_hi_u32 s25, s8, s14
	s_add_i32 s24, s25, s24
	s_mul_i32 s25, s39, s14
	s_add_i32 s25, s24, s25
	s_mul_i32 s24, s8, s14
	s_waitcnt lgkmcnt(0)
	s_ashr_i32 s35, s34, 31
	s_lshl_b64 s[24:25], s[24:25], 2
	s_add_u32 s45, s42, s24
	s_addc_u32 s47, s43, s25
	s_mul_i32 s24, s38, s17
	s_mul_hi_u32 s25, s38, s16
	s_add_i32 s24, s25, s24
	s_mul_i32 s25, s46, s16
	s_add_i32 s25, s24, s25
	s_mul_i32 s24, s38, s16
	s_lshl_b64 s[24:25], s[24:25], 2
	s_add_u32 s45, s45, s24
	s_addc_u32 s47, s47, s25
	s_mul_i32 s24, s34, s19
	s_mul_hi_u32 s25, s34, s18
	s_add_i32 s24, s25, s24
	s_mul_i32 s35, s35, s18
	s_add_i32 s24, s24, s35
	s_mul_i32 s34, s34, s18
	s_add_u32 s25, s36, s34
	s_mul_i32 s34, s8, s21
	s_mul_hi_u32 s35, s8, s20
	s_addc_u32 s24, s37, s24
	s_add_i32 s34, s35, s34
	s_mul_i32 s39, s39, s20
	s_add_i32 s34, s34, s39
	s_mul_i32 s8, s8, s20
	s_add_u32 s8, s25, s8
	s_addc_u32 s25, s24, s34
	s_mul_i32 s24, s38, s23
	s_mul_hi_u32 s34, s38, s22
	s_add_i32 s24, s34, s24
	s_load_dword s34, s[4:5], 0x4
	s_mul_i32 s46, s46, s22
	s_add_i32 s35, s24, s46
	s_mul_i32 s38, s38, s22
	s_add_u32 s24, s8, s38
	s_waitcnt lgkmcnt(0)
	s_mul_i32 s8, s34, s31
	s_addc_u32 s25, s25, s35
	s_lshl_b64 s[34:35], s[8:9], 25
	s_mov_b64 s[38:39], 0
	v_mov_b32_e32 v14, s47
	v_mov_b32_e32 v15, s9
	;; [unrolled: 1-line block ×4, first 2 shown]
	v_pk_mov_b32 v[8:9], v[4:5], v[4:5] op_sel:[0,1]
	v_pk_mov_b32 v[10:11], v[2:3], v[2:3] op_sel:[0,1]
	;; [unrolled: 1-line block ×3, first 2 shown]
.LBB4_5:                                ;   Parent Loop BB4_3 Depth=1
                                        ; =>  This Inner Loop Header: Depth=2
	v_and_b32_e32 v20, 0x7f, v12
	v_mad_i64_i32 v[18:19], s[46:47], v11, 18, s[24:25]
	v_bfe_u32 v21, v12, 3, 4
	v_add_u32_e32 v22, 1, v20
	v_add_co_u32_e32 v20, vcc, v18, v21
	v_addc_co_u32_e32 v21, vcc, 0, v19, vcc
	v_lshrrev_b32_e32 v24, 3, v22
	global_load_ushort v23, v[18:19], off
	s_nop 0
	global_load_ubyte v21, v[20:21], off offset:2
	v_add_co_u32_e32 v18, vcc, v18, v24
	v_addc_co_u32_e32 v19, vcc, 0, v19, vcc
	global_load_ubyte v24, v[18:19], off offset:2
	v_perm_b32 v20, v22, v12, s44
	v_add_co_u32_e32 v10, vcc, s34, v10
	v_and_b32_e32 v22, 0x70007, v20
	v_addc_co_u32_e32 v11, vcc, v11, v16, vcc
	v_ashrrev_i64 v[18:19], 30, v[8:9]
	v_add_co_u32_e32 v8, vcc, 0, v8
	v_addc_co_u32_e32 v9, vcc, v9, v17, vcc
	v_add_co_u32_e32 v18, vcc, s45, v18
	v_addc_co_u32_e32 v19, vcc, v14, v19, vcc
	;; [unrolled: 2-line block ×3, first 2 shown]
	v_cmp_le_i64_e32 vcc, s[28:29], v[12:13]
	s_or_b64 s[38:39], vcc, s[38:39]
	s_waitcnt vmcnt(2)
	v_cvt_f32_f16_e32 v20, v23
	s_waitcnt vmcnt(0)
	v_perm_b32 v21, v24, v21, s44
	v_pk_lshrrev_b16 v21, v22, v21
	v_pk_lshlrev_b16 v21, 1, v21 op_sel_hi:[0,1]
	v_and_b32_e32 v21, 0x20002, v21
	v_pk_add_u16 v21, v21, -1
	v_cvt_f32_i32_sdwa v23, sext(v21) dst_sel:DWORD dst_unused:UNUSED_PAD src0_sel:WORD_1
	v_cvt_f32_i32_sdwa v22, sext(v21) dst_sel:DWORD dst_unused:UNUSED_PAD src0_sel:WORD_0
	v_pk_mul_f32 v[20:21], v[20:21], v[22:23] op_sel_hi:[0,1]
	global_store_dwordx2 v[18:19], v[20:21], off
	s_andn2_b64 exec, exec, s[38:39]
	s_cbranch_execnz .LBB4_5
	s_branch .LBB4_2
.LBB4_6:
	s_endpgm
	.section	.rodata,"a",@progbits
	.p2align	6, 0x0
	.amdhsa_kernel _ZL10k_get_rowsILi128ELi1EXadL_ZL15dequantize_q1_0PKvliR15HIP_vector_typeIfLj2EEEEfEvS1_PKiPT2_llS2_IjLj3EEmmmmmmmmm
		.amdhsa_group_segment_fixed_size 0
		.amdhsa_private_segment_fixed_size 0
		.amdhsa_kernarg_size 384
		.amdhsa_user_sgpr_count 6
		.amdhsa_user_sgpr_private_segment_buffer 1
		.amdhsa_user_sgpr_dispatch_ptr 0
		.amdhsa_user_sgpr_queue_ptr 0
		.amdhsa_user_sgpr_kernarg_segment_ptr 1
		.amdhsa_user_sgpr_dispatch_id 0
		.amdhsa_user_sgpr_flat_scratch_init 0
		.amdhsa_user_sgpr_kernarg_preload_length 0
		.amdhsa_user_sgpr_kernarg_preload_offset 0
		.amdhsa_user_sgpr_private_segment_size 0
		.amdhsa_uses_dynamic_stack 0
		.amdhsa_system_sgpr_private_segment_wavefront_offset 0
		.amdhsa_system_sgpr_workgroup_id_x 1
		.amdhsa_system_sgpr_workgroup_id_y 1
		.amdhsa_system_sgpr_workgroup_id_z 1
		.amdhsa_system_sgpr_workgroup_info 0
		.amdhsa_system_vgpr_workitem_id 0
		.amdhsa_next_free_vgpr 25
		.amdhsa_next_free_sgpr 48
		.amdhsa_accum_offset 28
		.amdhsa_reserve_vcc 1
		.amdhsa_reserve_flat_scratch 0
		.amdhsa_float_round_mode_32 0
		.amdhsa_float_round_mode_16_64 0
		.amdhsa_float_denorm_mode_32 3
		.amdhsa_float_denorm_mode_16_64 3
		.amdhsa_dx10_clamp 1
		.amdhsa_ieee_mode 1
		.amdhsa_fp16_overflow 0
		.amdhsa_tg_split 0
		.amdhsa_exception_fp_ieee_invalid_op 0
		.amdhsa_exception_fp_denorm_src 0
		.amdhsa_exception_fp_ieee_div_zero 0
		.amdhsa_exception_fp_ieee_overflow 0
		.amdhsa_exception_fp_ieee_underflow 0
		.amdhsa_exception_fp_ieee_inexact 0
		.amdhsa_exception_int_div_zero 0
	.end_amdhsa_kernel
	.section	.text._ZL10k_get_rowsILi128ELi1EXadL_ZL15dequantize_q1_0PKvliR15HIP_vector_typeIfLj2EEEEfEvS1_PKiPT2_llS2_IjLj3EEmmmmmmmmm,"axG",@progbits,_ZL10k_get_rowsILi128ELi1EXadL_ZL15dequantize_q1_0PKvliR15HIP_vector_typeIfLj2EEEEfEvS1_PKiPT2_llS2_IjLj3EEmmmmmmmmm,comdat
.Lfunc_end4:
	.size	_ZL10k_get_rowsILi128ELi1EXadL_ZL15dequantize_q1_0PKvliR15HIP_vector_typeIfLj2EEEEfEvS1_PKiPT2_llS2_IjLj3EEmmmmmmmmm, .Lfunc_end4-_ZL10k_get_rowsILi128ELi1EXadL_ZL15dequantize_q1_0PKvliR15HIP_vector_typeIfLj2EEEEfEvS1_PKiPT2_llS2_IjLj3EEmmmmmmmmm
                                        ; -- End function
	.section	.AMDGPU.csdata,"",@progbits
; Kernel info:
; codeLenInByte = 884
; NumSgprs: 52
; NumVgprs: 25
; NumAgprs: 0
; TotalNumVgprs: 25
; ScratchSize: 0
; MemoryBound: 0
; FloatMode: 240
; IeeeMode: 1
; LDSByteSize: 0 bytes/workgroup (compile time only)
; SGPRBlocks: 6
; VGPRBlocks: 3
; NumSGPRsForWavesPerEU: 52
; NumVGPRsForWavesPerEU: 25
; AccumOffset: 28
; Occupancy: 8
; WaveLimiterHint : 1
; COMPUTE_PGM_RSRC2:SCRATCH_EN: 0
; COMPUTE_PGM_RSRC2:USER_SGPR: 6
; COMPUTE_PGM_RSRC2:TRAP_HANDLER: 0
; COMPUTE_PGM_RSRC2:TGID_X_EN: 1
; COMPUTE_PGM_RSRC2:TGID_Y_EN: 1
; COMPUTE_PGM_RSRC2:TGID_Z_EN: 1
; COMPUTE_PGM_RSRC2:TIDIG_COMP_CNT: 0
; COMPUTE_PGM_RSRC3_GFX90A:ACCUM_OFFSET: 6
; COMPUTE_PGM_RSRC3_GFX90A:TG_SPLIT: 0
	.section	.text._ZL10k_get_rowsILi32ELi2EXadL_ZL15dequantize_q4_0PKvliR15HIP_vector_typeIfLj2EEEEfEvS1_PKiPT2_llS2_IjLj3EEmmmmmmmmm,"axG",@progbits,_ZL10k_get_rowsILi32ELi2EXadL_ZL15dequantize_q4_0PKvliR15HIP_vector_typeIfLj2EEEEfEvS1_PKiPT2_llS2_IjLj3EEmmmmmmmmm,comdat
	.globl	_ZL10k_get_rowsILi32ELi2EXadL_ZL15dequantize_q4_0PKvliR15HIP_vector_typeIfLj2EEEEfEvS1_PKiPT2_llS2_IjLj3EEmmmmmmmmm ; -- Begin function _ZL10k_get_rowsILi32ELi2EXadL_ZL15dequantize_q4_0PKvliR15HIP_vector_typeIfLj2EEEEfEvS1_PKiPT2_llS2_IjLj3EEmmmmmmmmm
	.p2align	8
	.type	_ZL10k_get_rowsILi32ELi2EXadL_ZL15dequantize_q4_0PKvliR15HIP_vector_typeIfLj2EEEEfEvS1_PKiPT2_llS2_IjLj3EEmmmmmmmmm,@function
_ZL10k_get_rowsILi32ELi2EXadL_ZL15dequantize_q4_0PKvliR15HIP_vector_typeIfLj2EEEEfEvS1_PKiPT2_llS2_IjLj3EEmmmmmmmmm: ; @_ZL10k_get_rowsILi32ELi2EXadL_ZL15dequantize_q4_0PKvliR15HIP_vector_typeIfLj2EEEEfEvS1_PKiPT2_llS2_IjLj3EEmmmmmmmmm
; %bb.0:
	s_load_dwordx4 s[28:31], s[4:5], 0x18
	s_load_dwordx2 s[2:3], s[4:5], 0x2c
	s_mov_b32 s9, 0
	v_pk_mov_b32 v[2:3], s[8:9], s[8:9] op_sel:[0,1]
	s_waitcnt lgkmcnt(0)
	s_mul_i32 s0, s3, s31
	s_mul_hi_u32 s1, s3, s30
	s_add_i32 s35, s1, s0
	s_mul_i32 s34, s3, s30
	v_cmp_le_i64_e32 vcc, s[34:35], v[2:3]
	s_cbranch_vccnz .LBB5_6
; %bb.1:
	s_load_dwordx4 s[36:39], s[4:5], 0x0
	s_load_dwordx2 s[42:43], s[4:5], 0x10
	s_load_dwordx2 s[10:11], s[4:5], 0x78
	;; [unrolled: 1-line block ×3, first 2 shown]
	s_load_dword s33, s[4:5], 0x28
	s_load_dwordx16 s[12:27], s[4:5], 0x38
	s_add_u32 s4, s4, 0x80
	s_addc_u32 s5, s5, 0
	s_waitcnt lgkmcnt(0)
	s_and_b32 s31, s31, 0xffff
	s_mul_i32 s7, s7, s31
	v_add_lshl_u32 v0, s7, v0, 1
	s_ashr_i32 s7, s6, 31
	s_mul_i32 s25, s6, s25
	s_mul_hi_u32 s40, s6, s24
	s_add_i32 s25, s40, s25
	s_mul_i32 s40, s7, s24
	s_add_i32 s25, s25, s40
	s_mul_i32 s24, s6, s24
	s_lshl_b64 s[24:25], s[24:25], 2
	s_add_u32 s40, s38, s24
	s_mul_i32 s13, s6, s13
	s_mul_hi_u32 s24, s6, s12
	s_addc_u32 s41, s39, s25
	s_add_i32 s13, s24, s13
	s_mul_i32 s7, s7, s12
	s_add_i32 s7, s13, s7
	s_mul_i32 s6, s6, s12
	s_lshl_b64 s[6:7], s[6:7], 2
	v_mov_b32_e32 v1, 0
	s_add_u32 s42, s42, s6
	v_cmp_gt_i64_e64 s[0:1], s[28:29], v[0:1]
	s_addc_u32 s43, s43, s7
	v_lshlrev_b64 v[2:3], 27, v[0:1]
	s_movk_i32 s44, 0xffe0
	v_pk_mov_b32 v[4:5], s[34:35], s[34:35] op_sel:[0,1]
	s_mov_b64 s[6:7], s[8:9]
	s_branch .LBB5_3
.LBB5_2:                                ;   in Loop: Header=BB5_3 Depth=1
	s_or_b64 exec, exec, s[12:13]
	s_add_u32 s6, s6, s30
	s_addc_u32 s7, s7, 0
	v_cmp_ge_i64_e32 vcc, s[6:7], v[4:5]
	s_cbranch_vccnz .LBB5_6
.LBB5_3:                                ; =>This Loop Header: Depth=1
                                        ;     Child Loop BB5_5 Depth 2
	s_and_saveexec_b64 s[12:13], s[0:1]
	s_cbranch_execz .LBB5_2
; %bb.4:                                ;   in Loop: Header=BB5_3 Depth=1
	s_mul_hi_u32 s8, s6, s33
	s_add_i32 s8, s8, s6
	s_lshr_b32 s8, s8, s2
	s_mul_i32 s24, s8, s3
	s_sub_i32 s38, s6, s24
	s_ashr_i32 s39, s8, 31
	s_mul_i32 s24, s8, s27
	s_mul_hi_u32 s25, s8, s26
	s_add_i32 s24, s25, s24
	s_mul_i32 s25, s39, s26
	s_ashr_i32 s46, s38, 31
	s_mul_i32 s34, s38, s11
	s_mul_hi_u32 s35, s38, s10
	s_add_i32 s25, s24, s25
	s_mul_i32 s24, s8, s26
	s_add_i32 s34, s35, s34
	s_mul_i32 s35, s46, s10
	s_add_i32 s35, s34, s35
	s_lshl_b64 s[24:25], s[24:25], 2
	s_mul_i32 s34, s38, s10
	s_add_u32 s45, s40, s24
	s_addc_u32 s47, s41, s25
	s_lshl_b64 s[24:25], s[34:35], 2
	s_add_u32 s24, s45, s24
	s_addc_u32 s25, s47, s25
	s_load_dword s34, s[24:25], 0x0
	s_mul_i32 s24, s8, s15
	s_mul_hi_u32 s25, s8, s14
	s_add_i32 s24, s25, s24
	s_mul_i32 s25, s39, s14
	s_add_i32 s25, s24, s25
	s_mul_i32 s24, s8, s14
	s_waitcnt lgkmcnt(0)
	s_ashr_i32 s35, s34, 31
	s_lshl_b64 s[24:25], s[24:25], 2
	s_add_u32 s45, s42, s24
	s_addc_u32 s47, s43, s25
	s_mul_i32 s24, s38, s17
	s_mul_hi_u32 s25, s38, s16
	s_add_i32 s24, s25, s24
	s_mul_i32 s25, s46, s16
	s_add_i32 s25, s24, s25
	s_mul_i32 s24, s38, s16
	s_lshl_b64 s[24:25], s[24:25], 2
	s_add_u32 s45, s45, s24
	s_addc_u32 s47, s47, s25
	s_mul_i32 s24, s34, s19
	s_mul_hi_u32 s25, s34, s18
	s_add_i32 s24, s25, s24
	s_mul_i32 s35, s35, s18
	s_add_i32 s24, s24, s35
	s_mul_i32 s34, s34, s18
	s_add_u32 s25, s36, s34
	s_mul_i32 s34, s8, s21
	s_mul_hi_u32 s35, s8, s20
	s_addc_u32 s24, s37, s24
	s_add_i32 s34, s35, s34
	s_mul_i32 s39, s39, s20
	s_add_i32 s34, s34, s39
	s_mul_i32 s8, s8, s20
	s_add_u32 s8, s25, s8
	s_addc_u32 s25, s24, s34
	s_mul_i32 s24, s38, s23
	s_mul_hi_u32 s34, s38, s22
	s_add_i32 s24, s34, s24
	s_load_dword s34, s[4:5], 0x4
	s_mul_i32 s46, s46, s22
	s_add_i32 s35, s24, s46
	s_mul_i32 s38, s38, s22
	s_add_u32 s24, s8, s38
	s_waitcnt lgkmcnt(0)
	s_mul_i32 s8, s34, s31
	s_addc_u32 s25, s25, s35
	s_lshl_b64 s[34:35], s[8:9], 27
	s_mov_b64 s[38:39], 0
	v_mov_b32_e32 v10, s47
	v_mov_b32_e32 v11, s9
	;; [unrolled: 1-line block ×3, first 2 shown]
	v_pk_mov_b32 v[6:7], v[2:3], v[2:3] op_sel:[0,1]
	v_pk_mov_b32 v[8:9], v[0:1], v[0:1] op_sel:[0,1]
.LBB5_5:                                ;   Parent Loop BB5_3 Depth=1
                                        ; =>  This Inner Loop Header: Depth=2
	v_bfe_u32 v13, v8, 1, 4
	v_mad_i64_i32 v[14:15], s[46:47], v7, 18, s[24:25]
	v_add_co_u32_e32 v16, vcc, v14, v13
	v_addc_co_u32_e32 v17, vcc, 0, v15, vcc
	global_load_ushort v18, v[14:15], off
	global_load_ubyte v19, v[16:17], off offset:2
	v_add_co_u32_e32 v6, vcc, s34, v6
	v_addc_co_u32_e32 v7, vcc, v7, v12, vcc
	v_and_or_b32 v14, v8, s44, v13
	v_add_co_u32_e32 v8, vcc, s8, v8
	v_addc_co_u32_e32 v9, vcc, v9, v11, vcc
	v_ashrrev_i32_e32 v15, 31, v14
	v_cmp_le_i64_e32 vcc, s[28:29], v[8:9]
	v_lshlrev_b64 v[14:15], 2, v[14:15]
	s_or_b64 s[38:39], vcc, s[38:39]
	v_add_co_u32_e32 v14, vcc, s45, v14
	v_addc_co_u32_e32 v15, vcc, v10, v15, vcc
	s_waitcnt vmcnt(1)
	v_cvt_f32_f16_e32 v13, v18
	s_waitcnt vmcnt(0)
	v_and_b32_e32 v16, 15, v19
	v_lshrrev_b32_e32 v17, 4, v19
	v_add_u32_e32 v16, -8, v16
	v_add_u32_e32 v17, -8, v17
	v_cvt_f32_i32_e32 v16, v16
	v_cvt_f32_i32_e32 v17, v17
	v_mul_f32_e32 v16, v13, v16
	v_mul_f32_e32 v13, v13, v17
	global_store_dword v[14:15], v16, off
	global_store_dword v[14:15], v13, off offset:64
	s_andn2_b64 exec, exec, s[38:39]
	s_cbranch_execnz .LBB5_5
	s_branch .LBB5_2
.LBB5_6:
	s_endpgm
	.section	.rodata,"a",@progbits
	.p2align	6, 0x0
	.amdhsa_kernel _ZL10k_get_rowsILi32ELi2EXadL_ZL15dequantize_q4_0PKvliR15HIP_vector_typeIfLj2EEEEfEvS1_PKiPT2_llS2_IjLj3EEmmmmmmmmm
		.amdhsa_group_segment_fixed_size 0
		.amdhsa_private_segment_fixed_size 0
		.amdhsa_kernarg_size 384
		.amdhsa_user_sgpr_count 6
		.amdhsa_user_sgpr_private_segment_buffer 1
		.amdhsa_user_sgpr_dispatch_ptr 0
		.amdhsa_user_sgpr_queue_ptr 0
		.amdhsa_user_sgpr_kernarg_segment_ptr 1
		.amdhsa_user_sgpr_dispatch_id 0
		.amdhsa_user_sgpr_flat_scratch_init 0
		.amdhsa_user_sgpr_kernarg_preload_length 0
		.amdhsa_user_sgpr_kernarg_preload_offset 0
		.amdhsa_user_sgpr_private_segment_size 0
		.amdhsa_uses_dynamic_stack 0
		.amdhsa_system_sgpr_private_segment_wavefront_offset 0
		.amdhsa_system_sgpr_workgroup_id_x 1
		.amdhsa_system_sgpr_workgroup_id_y 1
		.amdhsa_system_sgpr_workgroup_id_z 1
		.amdhsa_system_sgpr_workgroup_info 0
		.amdhsa_system_vgpr_workitem_id 0
		.amdhsa_next_free_vgpr 20
		.amdhsa_next_free_sgpr 48
		.amdhsa_accum_offset 20
		.amdhsa_reserve_vcc 1
		.amdhsa_reserve_flat_scratch 0
		.amdhsa_float_round_mode_32 0
		.amdhsa_float_round_mode_16_64 0
		.amdhsa_float_denorm_mode_32 3
		.amdhsa_float_denorm_mode_16_64 3
		.amdhsa_dx10_clamp 1
		.amdhsa_ieee_mode 1
		.amdhsa_fp16_overflow 0
		.amdhsa_tg_split 0
		.amdhsa_exception_fp_ieee_invalid_op 0
		.amdhsa_exception_fp_denorm_src 0
		.amdhsa_exception_fp_ieee_div_zero 0
		.amdhsa_exception_fp_ieee_overflow 0
		.amdhsa_exception_fp_ieee_underflow 0
		.amdhsa_exception_fp_ieee_inexact 0
		.amdhsa_exception_int_div_zero 0
	.end_amdhsa_kernel
	.section	.text._ZL10k_get_rowsILi32ELi2EXadL_ZL15dequantize_q4_0PKvliR15HIP_vector_typeIfLj2EEEEfEvS1_PKiPT2_llS2_IjLj3EEmmmmmmmmm,"axG",@progbits,_ZL10k_get_rowsILi32ELi2EXadL_ZL15dequantize_q4_0PKvliR15HIP_vector_typeIfLj2EEEEfEvS1_PKiPT2_llS2_IjLj3EEmmmmmmmmm,comdat
.Lfunc_end5:
	.size	_ZL10k_get_rowsILi32ELi2EXadL_ZL15dequantize_q4_0PKvliR15HIP_vector_typeIfLj2EEEEfEvS1_PKiPT2_llS2_IjLj3EEmmmmmmmmm, .Lfunc_end5-_ZL10k_get_rowsILi32ELi2EXadL_ZL15dequantize_q4_0PKvliR15HIP_vector_typeIfLj2EEEEfEvS1_PKiPT2_llS2_IjLj3EEmmmmmmmmm
                                        ; -- End function
	.section	.AMDGPU.csdata,"",@progbits
; Kernel info:
; codeLenInByte = 788
; NumSgprs: 52
; NumVgprs: 20
; NumAgprs: 0
; TotalNumVgprs: 20
; ScratchSize: 0
; MemoryBound: 0
; FloatMode: 240
; IeeeMode: 1
; LDSByteSize: 0 bytes/workgroup (compile time only)
; SGPRBlocks: 6
; VGPRBlocks: 2
; NumSGPRsForWavesPerEU: 52
; NumVGPRsForWavesPerEU: 20
; AccumOffset: 20
; Occupancy: 8
; WaveLimiterHint : 1
; COMPUTE_PGM_RSRC2:SCRATCH_EN: 0
; COMPUTE_PGM_RSRC2:USER_SGPR: 6
; COMPUTE_PGM_RSRC2:TRAP_HANDLER: 0
; COMPUTE_PGM_RSRC2:TGID_X_EN: 1
; COMPUTE_PGM_RSRC2:TGID_Y_EN: 1
; COMPUTE_PGM_RSRC2:TGID_Z_EN: 1
; COMPUTE_PGM_RSRC2:TIDIG_COMP_CNT: 0
; COMPUTE_PGM_RSRC3_GFX90A:ACCUM_OFFSET: 4
; COMPUTE_PGM_RSRC3_GFX90A:TG_SPLIT: 0
	.section	.text._ZL10k_get_rowsILi32ELi2EXadL_ZL15dequantize_q4_1PKvliR15HIP_vector_typeIfLj2EEEEfEvS1_PKiPT2_llS2_IjLj3EEmmmmmmmmm,"axG",@progbits,_ZL10k_get_rowsILi32ELi2EXadL_ZL15dequantize_q4_1PKvliR15HIP_vector_typeIfLj2EEEEfEvS1_PKiPT2_llS2_IjLj3EEmmmmmmmmm,comdat
	.globl	_ZL10k_get_rowsILi32ELi2EXadL_ZL15dequantize_q4_1PKvliR15HIP_vector_typeIfLj2EEEEfEvS1_PKiPT2_llS2_IjLj3EEmmmmmmmmm ; -- Begin function _ZL10k_get_rowsILi32ELi2EXadL_ZL15dequantize_q4_1PKvliR15HIP_vector_typeIfLj2EEEEfEvS1_PKiPT2_llS2_IjLj3EEmmmmmmmmm
	.p2align	8
	.type	_ZL10k_get_rowsILi32ELi2EXadL_ZL15dequantize_q4_1PKvliR15HIP_vector_typeIfLj2EEEEfEvS1_PKiPT2_llS2_IjLj3EEmmmmmmmmm,@function
_ZL10k_get_rowsILi32ELi2EXadL_ZL15dequantize_q4_1PKvliR15HIP_vector_typeIfLj2EEEEfEvS1_PKiPT2_llS2_IjLj3EEmmmmmmmmm: ; @_ZL10k_get_rowsILi32ELi2EXadL_ZL15dequantize_q4_1PKvliR15HIP_vector_typeIfLj2EEEEfEvS1_PKiPT2_llS2_IjLj3EEmmmmmmmmm
; %bb.0:
	s_load_dwordx4 s[28:31], s[4:5], 0x18
	s_load_dwordx2 s[2:3], s[4:5], 0x2c
	s_mov_b32 s9, 0
	v_pk_mov_b32 v[2:3], s[8:9], s[8:9] op_sel:[0,1]
	s_waitcnt lgkmcnt(0)
	s_mul_i32 s0, s3, s31
	s_mul_hi_u32 s1, s3, s30
	s_add_i32 s35, s1, s0
	s_mul_i32 s34, s3, s30
	v_cmp_le_i64_e32 vcc, s[34:35], v[2:3]
	s_cbranch_vccnz .LBB6_6
; %bb.1:
	s_load_dwordx4 s[36:39], s[4:5], 0x0
	s_load_dwordx2 s[42:43], s[4:5], 0x10
	s_load_dwordx2 s[10:11], s[4:5], 0x78
	s_load_dwordx2 s[30:31], s[4:5], 0x88
	s_load_dword s33, s[4:5], 0x28
	s_load_dwordx16 s[12:27], s[4:5], 0x38
	s_add_u32 s4, s4, 0x80
	s_addc_u32 s5, s5, 0
	s_waitcnt lgkmcnt(0)
	s_and_b32 s31, s31, 0xffff
	s_mul_i32 s7, s7, s31
	v_add_lshl_u32 v0, s7, v0, 1
	s_ashr_i32 s7, s6, 31
	s_mul_i32 s25, s6, s25
	s_mul_hi_u32 s40, s6, s24
	s_add_i32 s25, s40, s25
	s_mul_i32 s40, s7, s24
	s_add_i32 s25, s25, s40
	s_mul_i32 s24, s6, s24
	s_lshl_b64 s[24:25], s[24:25], 2
	s_add_u32 s40, s38, s24
	s_mul_i32 s13, s6, s13
	s_mul_hi_u32 s24, s6, s12
	s_addc_u32 s41, s39, s25
	s_add_i32 s13, s24, s13
	s_mul_i32 s7, s7, s12
	s_add_i32 s7, s13, s7
	s_mul_i32 s6, s6, s12
	s_lshl_b64 s[6:7], s[6:7], 2
	v_mov_b32_e32 v1, 0
	s_add_u32 s42, s42, s6
	v_cmp_gt_i64_e64 s[0:1], s[28:29], v[0:1]
	s_addc_u32 s43, s43, s7
	v_lshlrev_b64 v[2:3], 27, v[0:1]
	s_movk_i32 s44, 0xffe0
	v_pk_mov_b32 v[4:5], s[34:35], s[34:35] op_sel:[0,1]
	s_mov_b64 s[6:7], s[8:9]
	s_branch .LBB6_3
.LBB6_2:                                ;   in Loop: Header=BB6_3 Depth=1
	s_or_b64 exec, exec, s[12:13]
	s_add_u32 s6, s6, s30
	s_addc_u32 s7, s7, 0
	v_cmp_ge_i64_e32 vcc, s[6:7], v[4:5]
	s_cbranch_vccnz .LBB6_6
.LBB6_3:                                ; =>This Loop Header: Depth=1
                                        ;     Child Loop BB6_5 Depth 2
	s_and_saveexec_b64 s[12:13], s[0:1]
	s_cbranch_execz .LBB6_2
; %bb.4:                                ;   in Loop: Header=BB6_3 Depth=1
	s_mul_hi_u32 s8, s6, s33
	s_add_i32 s8, s8, s6
	s_lshr_b32 s8, s8, s2
	s_mul_i32 s24, s8, s3
	s_sub_i32 s38, s6, s24
	s_ashr_i32 s39, s8, 31
	s_mul_i32 s24, s8, s27
	s_mul_hi_u32 s25, s8, s26
	s_add_i32 s24, s25, s24
	s_mul_i32 s25, s39, s26
	s_ashr_i32 s46, s38, 31
	s_mul_i32 s34, s38, s11
	s_mul_hi_u32 s35, s38, s10
	s_add_i32 s25, s24, s25
	s_mul_i32 s24, s8, s26
	s_add_i32 s34, s35, s34
	s_mul_i32 s35, s46, s10
	s_add_i32 s35, s34, s35
	s_lshl_b64 s[24:25], s[24:25], 2
	s_mul_i32 s34, s38, s10
	s_add_u32 s45, s40, s24
	s_addc_u32 s47, s41, s25
	s_lshl_b64 s[24:25], s[34:35], 2
	s_add_u32 s24, s45, s24
	s_addc_u32 s25, s47, s25
	s_load_dword s34, s[24:25], 0x0
	s_mul_i32 s24, s8, s15
	s_mul_hi_u32 s25, s8, s14
	s_add_i32 s24, s25, s24
	s_mul_i32 s25, s39, s14
	s_add_i32 s25, s24, s25
	s_mul_i32 s24, s8, s14
	s_waitcnt lgkmcnt(0)
	s_ashr_i32 s35, s34, 31
	s_lshl_b64 s[24:25], s[24:25], 2
	s_add_u32 s45, s42, s24
	s_addc_u32 s47, s43, s25
	s_mul_i32 s24, s38, s17
	s_mul_hi_u32 s25, s38, s16
	s_add_i32 s24, s25, s24
	s_mul_i32 s25, s46, s16
	s_add_i32 s25, s24, s25
	s_mul_i32 s24, s38, s16
	s_lshl_b64 s[24:25], s[24:25], 2
	s_add_u32 s45, s45, s24
	s_addc_u32 s47, s47, s25
	s_mul_i32 s24, s34, s19
	s_mul_hi_u32 s25, s34, s18
	s_add_i32 s24, s25, s24
	s_mul_i32 s35, s35, s18
	s_add_i32 s24, s24, s35
	s_mul_i32 s34, s34, s18
	s_add_u32 s25, s36, s34
	s_mul_i32 s34, s8, s21
	s_mul_hi_u32 s35, s8, s20
	s_addc_u32 s24, s37, s24
	s_add_i32 s34, s35, s34
	s_mul_i32 s39, s39, s20
	s_add_i32 s34, s34, s39
	s_mul_i32 s8, s8, s20
	s_add_u32 s8, s25, s8
	s_addc_u32 s25, s24, s34
	s_mul_i32 s24, s38, s23
	s_mul_hi_u32 s34, s38, s22
	s_add_i32 s24, s34, s24
	s_load_dword s34, s[4:5], 0x4
	s_mul_i32 s46, s46, s22
	s_add_i32 s35, s24, s46
	s_mul_i32 s38, s38, s22
	s_add_u32 s24, s8, s38
	s_waitcnt lgkmcnt(0)
	s_mul_i32 s8, s34, s31
	s_addc_u32 s25, s25, s35
	s_lshl_b64 s[34:35], s[8:9], 27
	s_mov_b64 s[38:39], 0
	v_mov_b32_e32 v10, s47
	v_mov_b32_e32 v11, s9
	;; [unrolled: 1-line block ×3, first 2 shown]
	v_pk_mov_b32 v[6:7], v[2:3], v[2:3] op_sel:[0,1]
	v_pk_mov_b32 v[8:9], v[0:1], v[0:1] op_sel:[0,1]
.LBB6_5:                                ;   Parent Loop BB6_3 Depth=1
                                        ; =>  This Inner Loop Header: Depth=2
	v_bfe_u32 v13, v8, 1, 4
	v_mad_i64_i32 v[14:15], s[46:47], v7, 20, s[24:25]
	v_add_co_u32_e32 v16, vcc, v14, v13
	v_addc_co_u32_e32 v17, vcc, 0, v15, vcc
	global_load_dword v18, v[14:15], off
	global_load_ubyte v19, v[16:17], off offset:4
	v_add_co_u32_e32 v6, vcc, s34, v6
	v_addc_co_u32_e32 v7, vcc, v7, v12, vcc
	v_and_or_b32 v14, v8, s44, v13
	v_add_co_u32_e32 v8, vcc, s8, v8
	v_addc_co_u32_e32 v9, vcc, v9, v11, vcc
	v_ashrrev_i32_e32 v15, 31, v14
	v_cmp_le_i64_e32 vcc, s[28:29], v[8:9]
	v_lshlrev_b64 v[14:15], 2, v[14:15]
	s_or_b64 s[38:39], vcc, s[38:39]
	v_add_co_u32_e32 v14, vcc, s45, v14
	v_addc_co_u32_e32 v15, vcc, v10, v15, vcc
	s_waitcnt vmcnt(0)
	v_and_b32_e32 v13, 15, v19
	v_lshrrev_b32_e32 v16, 4, v19
	v_cvt_f32_ubyte0_e32 v13, v13
	v_cvt_f32_ubyte0_e32 v16, v16
	v_fma_mix_f32 v13, v18, v13, v18 op_sel:[0,0,1] op_sel_hi:[1,0,1]
	v_fma_mix_f32 v16, v18, v16, v18 op_sel:[0,0,1] op_sel_hi:[1,0,1]
	global_store_dword v[14:15], v13, off
	global_store_dword v[14:15], v16, off offset:64
	s_andn2_b64 exec, exec, s[38:39]
	s_cbranch_execnz .LBB6_5
	s_branch .LBB6_2
.LBB6_6:
	s_endpgm
	.section	.rodata,"a",@progbits
	.p2align	6, 0x0
	.amdhsa_kernel _ZL10k_get_rowsILi32ELi2EXadL_ZL15dequantize_q4_1PKvliR15HIP_vector_typeIfLj2EEEEfEvS1_PKiPT2_llS2_IjLj3EEmmmmmmmmm
		.amdhsa_group_segment_fixed_size 0
		.amdhsa_private_segment_fixed_size 0
		.amdhsa_kernarg_size 384
		.amdhsa_user_sgpr_count 6
		.amdhsa_user_sgpr_private_segment_buffer 1
		.amdhsa_user_sgpr_dispatch_ptr 0
		.amdhsa_user_sgpr_queue_ptr 0
		.amdhsa_user_sgpr_kernarg_segment_ptr 1
		.amdhsa_user_sgpr_dispatch_id 0
		.amdhsa_user_sgpr_flat_scratch_init 0
		.amdhsa_user_sgpr_kernarg_preload_length 0
		.amdhsa_user_sgpr_kernarg_preload_offset 0
		.amdhsa_user_sgpr_private_segment_size 0
		.amdhsa_uses_dynamic_stack 0
		.amdhsa_system_sgpr_private_segment_wavefront_offset 0
		.amdhsa_system_sgpr_workgroup_id_x 1
		.amdhsa_system_sgpr_workgroup_id_y 1
		.amdhsa_system_sgpr_workgroup_id_z 1
		.amdhsa_system_sgpr_workgroup_info 0
		.amdhsa_system_vgpr_workitem_id 0
		.amdhsa_next_free_vgpr 20
		.amdhsa_next_free_sgpr 48
		.amdhsa_accum_offset 20
		.amdhsa_reserve_vcc 1
		.amdhsa_reserve_flat_scratch 0
		.amdhsa_float_round_mode_32 0
		.amdhsa_float_round_mode_16_64 0
		.amdhsa_float_denorm_mode_32 3
		.amdhsa_float_denorm_mode_16_64 3
		.amdhsa_dx10_clamp 1
		.amdhsa_ieee_mode 1
		.amdhsa_fp16_overflow 0
		.amdhsa_tg_split 0
		.amdhsa_exception_fp_ieee_invalid_op 0
		.amdhsa_exception_fp_denorm_src 0
		.amdhsa_exception_fp_ieee_div_zero 0
		.amdhsa_exception_fp_ieee_overflow 0
		.amdhsa_exception_fp_ieee_underflow 0
		.amdhsa_exception_fp_ieee_inexact 0
		.amdhsa_exception_int_div_zero 0
	.end_amdhsa_kernel
	.section	.text._ZL10k_get_rowsILi32ELi2EXadL_ZL15dequantize_q4_1PKvliR15HIP_vector_typeIfLj2EEEEfEvS1_PKiPT2_llS2_IjLj3EEmmmmmmmmm,"axG",@progbits,_ZL10k_get_rowsILi32ELi2EXadL_ZL15dequantize_q4_1PKvliR15HIP_vector_typeIfLj2EEEEfEvS1_PKiPT2_llS2_IjLj3EEmmmmmmmmm,comdat
.Lfunc_end6:
	.size	_ZL10k_get_rowsILi32ELi2EXadL_ZL15dequantize_q4_1PKvliR15HIP_vector_typeIfLj2EEEEfEvS1_PKiPT2_llS2_IjLj3EEmmmmmmmmm, .Lfunc_end6-_ZL10k_get_rowsILi32ELi2EXadL_ZL15dequantize_q4_1PKvliR15HIP_vector_typeIfLj2EEEEfEvS1_PKiPT2_llS2_IjLj3EEmmmmmmmmm
                                        ; -- End function
	.section	.AMDGPU.csdata,"",@progbits
; Kernel info:
; codeLenInByte = 780
; NumSgprs: 52
; NumVgprs: 20
; NumAgprs: 0
; TotalNumVgprs: 20
; ScratchSize: 0
; MemoryBound: 0
; FloatMode: 240
; IeeeMode: 1
; LDSByteSize: 0 bytes/workgroup (compile time only)
; SGPRBlocks: 6
; VGPRBlocks: 2
; NumSGPRsForWavesPerEU: 52
; NumVGPRsForWavesPerEU: 20
; AccumOffset: 20
; Occupancy: 8
; WaveLimiterHint : 1
; COMPUTE_PGM_RSRC2:SCRATCH_EN: 0
; COMPUTE_PGM_RSRC2:USER_SGPR: 6
; COMPUTE_PGM_RSRC2:TRAP_HANDLER: 0
; COMPUTE_PGM_RSRC2:TGID_X_EN: 1
; COMPUTE_PGM_RSRC2:TGID_Y_EN: 1
; COMPUTE_PGM_RSRC2:TGID_Z_EN: 1
; COMPUTE_PGM_RSRC2:TIDIG_COMP_CNT: 0
; COMPUTE_PGM_RSRC3_GFX90A:ACCUM_OFFSET: 4
; COMPUTE_PGM_RSRC3_GFX90A:TG_SPLIT: 0
	.section	.text._ZL10k_get_rowsILi32ELi2EXadL_ZL15dequantize_q5_0PKvliR15HIP_vector_typeIfLj2EEEEfEvS1_PKiPT2_llS2_IjLj3EEmmmmmmmmm,"axG",@progbits,_ZL10k_get_rowsILi32ELi2EXadL_ZL15dequantize_q5_0PKvliR15HIP_vector_typeIfLj2EEEEfEvS1_PKiPT2_llS2_IjLj3EEmmmmmmmmm,comdat
	.globl	_ZL10k_get_rowsILi32ELi2EXadL_ZL15dequantize_q5_0PKvliR15HIP_vector_typeIfLj2EEEEfEvS1_PKiPT2_llS2_IjLj3EEmmmmmmmmm ; -- Begin function _ZL10k_get_rowsILi32ELi2EXadL_ZL15dequantize_q5_0PKvliR15HIP_vector_typeIfLj2EEEEfEvS1_PKiPT2_llS2_IjLj3EEmmmmmmmmm
	.p2align	8
	.type	_ZL10k_get_rowsILi32ELi2EXadL_ZL15dequantize_q5_0PKvliR15HIP_vector_typeIfLj2EEEEfEvS1_PKiPT2_llS2_IjLj3EEmmmmmmmmm,@function
_ZL10k_get_rowsILi32ELi2EXadL_ZL15dequantize_q5_0PKvliR15HIP_vector_typeIfLj2EEEEfEvS1_PKiPT2_llS2_IjLj3EEmmmmmmmmm: ; @_ZL10k_get_rowsILi32ELi2EXadL_ZL15dequantize_q5_0PKvliR15HIP_vector_typeIfLj2EEEEfEvS1_PKiPT2_llS2_IjLj3EEmmmmmmmmm
; %bb.0:
	s_load_dwordx4 s[28:31], s[4:5], 0x18
	s_load_dwordx2 s[2:3], s[4:5], 0x2c
	s_mov_b32 s9, 0
	v_pk_mov_b32 v[2:3], s[8:9], s[8:9] op_sel:[0,1]
	s_waitcnt lgkmcnt(0)
	s_mul_i32 s0, s3, s31
	s_mul_hi_u32 s1, s3, s30
	s_add_i32 s35, s1, s0
	s_mul_i32 s34, s3, s30
	v_cmp_le_i64_e32 vcc, s[34:35], v[2:3]
	s_cbranch_vccnz .LBB7_6
; %bb.1:
	s_load_dwordx4 s[36:39], s[4:5], 0x0
	s_load_dwordx2 s[42:43], s[4:5], 0x10
	s_load_dwordx2 s[10:11], s[4:5], 0x78
	;; [unrolled: 1-line block ×3, first 2 shown]
	s_load_dword s33, s[4:5], 0x28
	s_load_dwordx16 s[12:27], s[4:5], 0x38
	s_add_u32 s4, s4, 0x80
	s_addc_u32 s5, s5, 0
	s_waitcnt lgkmcnt(0)
	s_and_b32 s31, s31, 0xffff
	s_mul_i32 s7, s7, s31
	v_add_lshl_u32 v0, s7, v0, 1
	s_ashr_i32 s7, s6, 31
	s_mul_i32 s25, s6, s25
	s_mul_hi_u32 s40, s6, s24
	s_add_i32 s25, s40, s25
	s_mul_i32 s40, s7, s24
	s_add_i32 s25, s25, s40
	s_mul_i32 s24, s6, s24
	s_lshl_b64 s[24:25], s[24:25], 2
	s_add_u32 s40, s38, s24
	s_mul_i32 s13, s6, s13
	s_mul_hi_u32 s24, s6, s12
	s_addc_u32 s41, s39, s25
	s_add_i32 s13, s24, s13
	s_mul_i32 s7, s7, s12
	s_add_i32 s7, s13, s7
	s_mul_i32 s6, s6, s12
	s_lshl_b64 s[6:7], s[6:7], 2
	v_mov_b32_e32 v1, 0
	s_add_u32 s42, s42, s6
	v_cmp_gt_i64_e64 s[0:1], s[28:29], v[0:1]
	s_addc_u32 s43, s43, s7
	v_lshlrev_b64 v[2:3], 27, v[0:1]
	s_mov_b32 s44, 0x1000706
	s_movk_i32 s45, 0xffe0
	v_pk_mov_b32 v[4:5], s[34:35], s[34:35] op_sel:[0,1]
	s_mov_b64 s[6:7], s[8:9]
	s_branch .LBB7_3
.LBB7_2:                                ;   in Loop: Header=BB7_3 Depth=1
	s_or_b64 exec, exec, s[12:13]
	s_add_u32 s6, s6, s30
	s_addc_u32 s7, s7, 0
	v_cmp_ge_i64_e32 vcc, s[6:7], v[4:5]
	s_cbranch_vccnz .LBB7_6
.LBB7_3:                                ; =>This Loop Header: Depth=1
                                        ;     Child Loop BB7_5 Depth 2
	s_and_saveexec_b64 s[12:13], s[0:1]
	s_cbranch_execz .LBB7_2
; %bb.4:                                ;   in Loop: Header=BB7_3 Depth=1
	s_mul_hi_u32 s8, s6, s33
	s_add_i32 s8, s8, s6
	s_lshr_b32 s8, s8, s2
	s_mul_i32 s24, s8, s3
	s_sub_i32 s38, s6, s24
	s_ashr_i32 s39, s8, 31
	s_mul_i32 s24, s8, s27
	s_mul_hi_u32 s25, s8, s26
	s_add_i32 s24, s25, s24
	s_mul_i32 s25, s39, s26
	s_ashr_i32 s47, s38, 31
	s_mul_i32 s34, s38, s11
	s_mul_hi_u32 s35, s38, s10
	s_add_i32 s25, s24, s25
	s_mul_i32 s24, s8, s26
	s_add_i32 s34, s35, s34
	s_mul_i32 s35, s47, s10
	s_add_i32 s35, s34, s35
	s_lshl_b64 s[24:25], s[24:25], 2
	s_mul_i32 s34, s38, s10
	s_add_u32 s46, s40, s24
	s_addc_u32 s48, s41, s25
	s_lshl_b64 s[24:25], s[34:35], 2
	s_add_u32 s24, s46, s24
	s_addc_u32 s25, s48, s25
	s_load_dword s34, s[24:25], 0x0
	s_mul_i32 s24, s8, s15
	s_mul_hi_u32 s25, s8, s14
	s_add_i32 s24, s25, s24
	s_mul_i32 s25, s39, s14
	s_add_i32 s25, s24, s25
	s_mul_i32 s24, s8, s14
	s_waitcnt lgkmcnt(0)
	s_ashr_i32 s35, s34, 31
	s_lshl_b64 s[24:25], s[24:25], 2
	s_add_u32 s46, s42, s24
	s_addc_u32 s48, s43, s25
	s_mul_i32 s24, s38, s17
	s_mul_hi_u32 s25, s38, s16
	s_add_i32 s24, s25, s24
	s_mul_i32 s25, s47, s16
	s_add_i32 s25, s24, s25
	s_mul_i32 s24, s38, s16
	s_lshl_b64 s[24:25], s[24:25], 2
	s_add_u32 s46, s46, s24
	s_addc_u32 s48, s48, s25
	s_mul_i32 s24, s34, s19
	s_mul_hi_u32 s25, s34, s18
	s_add_i32 s24, s25, s24
	s_mul_i32 s35, s35, s18
	s_add_i32 s24, s24, s35
	s_mul_i32 s34, s34, s18
	s_add_u32 s25, s36, s34
	s_mul_i32 s34, s8, s21
	s_mul_hi_u32 s35, s8, s20
	s_addc_u32 s24, s37, s24
	s_add_i32 s34, s35, s34
	s_mul_i32 s39, s39, s20
	s_add_i32 s34, s34, s39
	s_mul_i32 s8, s8, s20
	s_add_u32 s8, s25, s8
	s_addc_u32 s25, s24, s34
	s_mul_i32 s24, s38, s23
	s_mul_hi_u32 s34, s38, s22
	s_add_i32 s24, s34, s24
	s_load_dword s34, s[4:5], 0x4
	s_mul_i32 s47, s47, s22
	s_add_i32 s35, s24, s47
	s_mul_i32 s38, s38, s22
	s_add_u32 s24, s8, s38
	s_waitcnt lgkmcnt(0)
	s_mul_i32 s8, s34, s31
	s_addc_u32 s25, s25, s35
	s_lshl_b64 s[34:35], s[8:9], 27
	s_mov_b64 s[38:39], 0
	v_mov_b32_e32 v10, s48
	v_mov_b32_e32 v11, s9
	;; [unrolled: 1-line block ×3, first 2 shown]
	v_pk_mov_b32 v[6:7], v[2:3], v[2:3] op_sel:[0,1]
	v_pk_mov_b32 v[8:9], v[0:1], v[0:1] op_sel:[0,1]
.LBB7_5:                                ;   Parent Loop BB7_3 Depth=1
                                        ; =>  This Inner Loop Header: Depth=2
	v_bfe_u32 v13, v8, 1, 4
	v_mad_i64_i32 v[14:15], s[48:49], v7, 22, s[24:25]
	global_load_dword v16, v[14:15], off
	global_load_ushort v17, v[14:15], off offset:4
	v_add_co_u32_e32 v14, vcc, v14, v13
	v_addc_co_u32_e32 v15, vcc, 0, v15, vcc
	global_load_ubyte v18, v[14:15], off offset:6
	v_add_u32_e32 v19, 12, v13
	v_and_or_b32 v14, v8, s45, v13
	v_add_co_u32_e32 v6, vcc, s34, v6
	v_addc_co_u32_e32 v7, vcc, v7, v12, vcc
	v_add_co_u32_e32 v8, vcc, s8, v8
	v_addc_co_u32_e32 v9, vcc, v9, v11, vcc
	v_ashrrev_i32_e32 v15, 31, v14
	v_cmp_le_i64_e32 vcc, s[28:29], v[8:9]
	v_lshlrev_b64 v[14:15], 2, v[14:15]
	s_or_b64 s[38:39], vcc, s[38:39]
	v_add_co_u32_e32 v14, vcc, s46, v14
	v_addc_co_u32_e32 v15, vcc, v10, v15, vcc
	s_waitcnt vmcnt(2)
	v_cvt_f32_f16_e32 v20, v16
	s_waitcnt vmcnt(1)
	v_perm_b32 v16, v16, v17, s44
	v_lshrrev_b32_e32 v13, v13, v16
	v_lshrrev_b32_e32 v16, v19, v16
	v_lshlrev_b32_e32 v13, 4, v13
	v_and_b32_e32 v16, 16, v16
	s_waitcnt vmcnt(0)
	v_lshrrev_b16_e32 v17, 4, v18
	v_or_b32_e32 v17, -16, v17
	v_or_b32_e32 v18, -16, v18
	v_and_b32_e32 v13, 16, v13
	v_add_u32_sdwa v16, v16, sext(v17) dst_sel:DWORD dst_unused:UNUSED_PAD src0_sel:DWORD src1_sel:WORD_0
	v_add_u32_e32 v13, v18, v13
	v_cvt_f32_i32_e32 v16, v16
	v_cvt_f32_i32_e32 v13, v13
	v_mul_f32_e32 v16, v20, v16
	v_mul_f32_e32 v13, v20, v13
	global_store_dword v[14:15], v16, off offset:64
	global_store_dword v[14:15], v13, off
	s_andn2_b64 exec, exec, s[38:39]
	s_cbranch_execnz .LBB7_5
	s_branch .LBB7_2
.LBB7_6:
	s_endpgm
	.section	.rodata,"a",@progbits
	.p2align	6, 0x0
	.amdhsa_kernel _ZL10k_get_rowsILi32ELi2EXadL_ZL15dequantize_q5_0PKvliR15HIP_vector_typeIfLj2EEEEfEvS1_PKiPT2_llS2_IjLj3EEmmmmmmmmm
		.amdhsa_group_segment_fixed_size 0
		.amdhsa_private_segment_fixed_size 0
		.amdhsa_kernarg_size 384
		.amdhsa_user_sgpr_count 6
		.amdhsa_user_sgpr_private_segment_buffer 1
		.amdhsa_user_sgpr_dispatch_ptr 0
		.amdhsa_user_sgpr_queue_ptr 0
		.amdhsa_user_sgpr_kernarg_segment_ptr 1
		.amdhsa_user_sgpr_dispatch_id 0
		.amdhsa_user_sgpr_flat_scratch_init 0
		.amdhsa_user_sgpr_kernarg_preload_length 0
		.amdhsa_user_sgpr_kernarg_preload_offset 0
		.amdhsa_user_sgpr_private_segment_size 0
		.amdhsa_uses_dynamic_stack 0
		.amdhsa_system_sgpr_private_segment_wavefront_offset 0
		.amdhsa_system_sgpr_workgroup_id_x 1
		.amdhsa_system_sgpr_workgroup_id_y 1
		.amdhsa_system_sgpr_workgroup_id_z 1
		.amdhsa_system_sgpr_workgroup_info 0
		.amdhsa_system_vgpr_workitem_id 0
		.amdhsa_next_free_vgpr 21
		.amdhsa_next_free_sgpr 50
		.amdhsa_accum_offset 24
		.amdhsa_reserve_vcc 1
		.amdhsa_reserve_flat_scratch 0
		.amdhsa_float_round_mode_32 0
		.amdhsa_float_round_mode_16_64 0
		.amdhsa_float_denorm_mode_32 3
		.amdhsa_float_denorm_mode_16_64 3
		.amdhsa_dx10_clamp 1
		.amdhsa_ieee_mode 1
		.amdhsa_fp16_overflow 0
		.amdhsa_tg_split 0
		.amdhsa_exception_fp_ieee_invalid_op 0
		.amdhsa_exception_fp_denorm_src 0
		.amdhsa_exception_fp_ieee_div_zero 0
		.amdhsa_exception_fp_ieee_overflow 0
		.amdhsa_exception_fp_ieee_underflow 0
		.amdhsa_exception_fp_ieee_inexact 0
		.amdhsa_exception_int_div_zero 0
	.end_amdhsa_kernel
	.section	.text._ZL10k_get_rowsILi32ELi2EXadL_ZL15dequantize_q5_0PKvliR15HIP_vector_typeIfLj2EEEEfEvS1_PKiPT2_llS2_IjLj3EEmmmmmmmmm,"axG",@progbits,_ZL10k_get_rowsILi32ELi2EXadL_ZL15dequantize_q5_0PKvliR15HIP_vector_typeIfLj2EEEEfEvS1_PKiPT2_llS2_IjLj3EEmmmmmmmmm,comdat
.Lfunc_end7:
	.size	_ZL10k_get_rowsILi32ELi2EXadL_ZL15dequantize_q5_0PKvliR15HIP_vector_typeIfLj2EEEEfEvS1_PKiPT2_llS2_IjLj3EEmmmmmmmmm, .Lfunc_end7-_ZL10k_get_rowsILi32ELi2EXadL_ZL15dequantize_q5_0PKvliR15HIP_vector_typeIfLj2EEEEfEvS1_PKiPT2_llS2_IjLj3EEmmmmmmmmm
                                        ; -- End function
	.section	.AMDGPU.csdata,"",@progbits
; Kernel info:
; codeLenInByte = 848
; NumSgprs: 54
; NumVgprs: 21
; NumAgprs: 0
; TotalNumVgprs: 21
; ScratchSize: 0
; MemoryBound: 0
; FloatMode: 240
; IeeeMode: 1
; LDSByteSize: 0 bytes/workgroup (compile time only)
; SGPRBlocks: 6
; VGPRBlocks: 2
; NumSGPRsForWavesPerEU: 54
; NumVGPRsForWavesPerEU: 21
; AccumOffset: 24
; Occupancy: 8
; WaveLimiterHint : 1
; COMPUTE_PGM_RSRC2:SCRATCH_EN: 0
; COMPUTE_PGM_RSRC2:USER_SGPR: 6
; COMPUTE_PGM_RSRC2:TRAP_HANDLER: 0
; COMPUTE_PGM_RSRC2:TGID_X_EN: 1
; COMPUTE_PGM_RSRC2:TGID_Y_EN: 1
; COMPUTE_PGM_RSRC2:TGID_Z_EN: 1
; COMPUTE_PGM_RSRC2:TIDIG_COMP_CNT: 0
; COMPUTE_PGM_RSRC3_GFX90A:ACCUM_OFFSET: 5
; COMPUTE_PGM_RSRC3_GFX90A:TG_SPLIT: 0
	.section	.text._ZL10k_get_rowsILi32ELi2EXadL_ZL15dequantize_q5_1PKvliR15HIP_vector_typeIfLj2EEEEfEvS1_PKiPT2_llS2_IjLj3EEmmmmmmmmm,"axG",@progbits,_ZL10k_get_rowsILi32ELi2EXadL_ZL15dequantize_q5_1PKvliR15HIP_vector_typeIfLj2EEEEfEvS1_PKiPT2_llS2_IjLj3EEmmmmmmmmm,comdat
	.globl	_ZL10k_get_rowsILi32ELi2EXadL_ZL15dequantize_q5_1PKvliR15HIP_vector_typeIfLj2EEEEfEvS1_PKiPT2_llS2_IjLj3EEmmmmmmmmm ; -- Begin function _ZL10k_get_rowsILi32ELi2EXadL_ZL15dequantize_q5_1PKvliR15HIP_vector_typeIfLj2EEEEfEvS1_PKiPT2_llS2_IjLj3EEmmmmmmmmm
	.p2align	8
	.type	_ZL10k_get_rowsILi32ELi2EXadL_ZL15dequantize_q5_1PKvliR15HIP_vector_typeIfLj2EEEEfEvS1_PKiPT2_llS2_IjLj3EEmmmmmmmmm,@function
_ZL10k_get_rowsILi32ELi2EXadL_ZL15dequantize_q5_1PKvliR15HIP_vector_typeIfLj2EEEEfEvS1_PKiPT2_llS2_IjLj3EEmmmmmmmmm: ; @_ZL10k_get_rowsILi32ELi2EXadL_ZL15dequantize_q5_1PKvliR15HIP_vector_typeIfLj2EEEEfEvS1_PKiPT2_llS2_IjLj3EEmmmmmmmmm
; %bb.0:
	s_load_dwordx4 s[28:31], s[4:5], 0x18
	s_load_dwordx2 s[2:3], s[4:5], 0x2c
	s_mov_b32 s9, 0
	v_pk_mov_b32 v[2:3], s[8:9], s[8:9] op_sel:[0,1]
	s_waitcnt lgkmcnt(0)
	s_mul_i32 s0, s3, s31
	s_mul_hi_u32 s1, s3, s30
	s_add_i32 s35, s1, s0
	s_mul_i32 s34, s3, s30
	v_cmp_le_i64_e32 vcc, s[34:35], v[2:3]
	s_cbranch_vccnz .LBB8_6
; %bb.1:
	s_load_dwordx4 s[36:39], s[4:5], 0x0
	s_load_dwordx2 s[42:43], s[4:5], 0x10
	s_load_dwordx2 s[10:11], s[4:5], 0x78
	s_load_dwordx2 s[30:31], s[4:5], 0x88
	s_load_dword s33, s[4:5], 0x28
	s_load_dwordx16 s[12:27], s[4:5], 0x38
	s_add_u32 s4, s4, 0x80
	s_addc_u32 s5, s5, 0
	s_waitcnt lgkmcnt(0)
	s_and_b32 s31, s31, 0xffff
	s_mul_i32 s7, s7, s31
	v_add_lshl_u32 v0, s7, v0, 1
	s_ashr_i32 s7, s6, 31
	s_mul_i32 s25, s6, s25
	s_mul_hi_u32 s40, s6, s24
	s_add_i32 s25, s40, s25
	s_mul_i32 s40, s7, s24
	s_add_i32 s25, s25, s40
	s_mul_i32 s24, s6, s24
	s_lshl_b64 s[24:25], s[24:25], 2
	s_add_u32 s40, s38, s24
	s_mul_i32 s13, s6, s13
	s_mul_hi_u32 s24, s6, s12
	s_addc_u32 s41, s39, s25
	s_add_i32 s13, s24, s13
	s_mul_i32 s7, s7, s12
	s_add_i32 s7, s13, s7
	s_mul_i32 s6, s6, s12
	s_lshl_b64 s[6:7], s[6:7], 2
	v_mov_b32_e32 v1, 0
	s_add_u32 s42, s42, s6
	v_cmp_gt_i64_e64 s[0:1], s[28:29], v[0:1]
	s_addc_u32 s43, s43, s7
	v_lshlrev_b64 v[2:3], 27, v[0:1]
	s_movk_i32 s44, 0xffe0
	v_pk_mov_b32 v[4:5], s[34:35], s[34:35] op_sel:[0,1]
	s_mov_b64 s[6:7], s[8:9]
	s_branch .LBB8_3
.LBB8_2:                                ;   in Loop: Header=BB8_3 Depth=1
	s_or_b64 exec, exec, s[12:13]
	s_add_u32 s6, s6, s30
	s_addc_u32 s7, s7, 0
	v_cmp_ge_i64_e32 vcc, s[6:7], v[4:5]
	s_cbranch_vccnz .LBB8_6
.LBB8_3:                                ; =>This Loop Header: Depth=1
                                        ;     Child Loop BB8_5 Depth 2
	s_and_saveexec_b64 s[12:13], s[0:1]
	s_cbranch_execz .LBB8_2
; %bb.4:                                ;   in Loop: Header=BB8_3 Depth=1
	s_mul_hi_u32 s8, s6, s33
	s_add_i32 s8, s8, s6
	s_lshr_b32 s8, s8, s2
	s_mul_i32 s24, s8, s3
	s_sub_i32 s38, s6, s24
	s_ashr_i32 s39, s8, 31
	s_mul_i32 s24, s8, s27
	s_mul_hi_u32 s25, s8, s26
	s_add_i32 s24, s25, s24
	s_mul_i32 s25, s39, s26
	s_ashr_i32 s46, s38, 31
	s_mul_i32 s34, s38, s11
	s_mul_hi_u32 s35, s38, s10
	s_add_i32 s25, s24, s25
	s_mul_i32 s24, s8, s26
	s_add_i32 s34, s35, s34
	s_mul_i32 s35, s46, s10
	s_add_i32 s35, s34, s35
	s_lshl_b64 s[24:25], s[24:25], 2
	s_mul_i32 s34, s38, s10
	s_add_u32 s45, s40, s24
	s_addc_u32 s47, s41, s25
	s_lshl_b64 s[24:25], s[34:35], 2
	s_add_u32 s24, s45, s24
	s_addc_u32 s25, s47, s25
	s_load_dword s34, s[24:25], 0x0
	s_mul_i32 s24, s8, s15
	s_mul_hi_u32 s25, s8, s14
	s_add_i32 s24, s25, s24
	s_mul_i32 s25, s39, s14
	s_add_i32 s25, s24, s25
	s_mul_i32 s24, s8, s14
	s_waitcnt lgkmcnt(0)
	s_ashr_i32 s35, s34, 31
	s_lshl_b64 s[24:25], s[24:25], 2
	s_add_u32 s45, s42, s24
	s_addc_u32 s47, s43, s25
	s_mul_i32 s24, s38, s17
	s_mul_hi_u32 s25, s38, s16
	s_add_i32 s24, s25, s24
	s_mul_i32 s25, s46, s16
	s_add_i32 s25, s24, s25
	s_mul_i32 s24, s38, s16
	s_lshl_b64 s[24:25], s[24:25], 2
	s_add_u32 s45, s45, s24
	s_addc_u32 s47, s47, s25
	s_mul_i32 s24, s34, s19
	s_mul_hi_u32 s25, s34, s18
	s_add_i32 s24, s25, s24
	s_mul_i32 s35, s35, s18
	s_add_i32 s24, s24, s35
	s_mul_i32 s34, s34, s18
	s_add_u32 s25, s36, s34
	s_mul_i32 s34, s8, s21
	s_mul_hi_u32 s35, s8, s20
	s_addc_u32 s24, s37, s24
	s_add_i32 s34, s35, s34
	s_mul_i32 s39, s39, s20
	s_add_i32 s34, s34, s39
	s_mul_i32 s8, s8, s20
	s_add_u32 s8, s25, s8
	s_addc_u32 s25, s24, s34
	s_mul_i32 s24, s38, s23
	s_mul_hi_u32 s34, s38, s22
	s_add_i32 s24, s34, s24
	s_load_dword s34, s[4:5], 0x4
	s_mul_i32 s46, s46, s22
	s_add_i32 s35, s24, s46
	s_mul_i32 s38, s38, s22
	s_add_u32 s24, s8, s38
	s_waitcnt lgkmcnt(0)
	s_mul_i32 s8, s34, s31
	s_addc_u32 s25, s25, s35
	s_lshl_b64 s[34:35], s[8:9], 27
	s_mov_b64 s[38:39], 0
	v_mov_b32_e32 v10, s47
	v_mov_b32_e32 v11, s9
	;; [unrolled: 1-line block ×3, first 2 shown]
	v_pk_mov_b32 v[6:7], v[2:3], v[2:3] op_sel:[0,1]
	v_pk_mov_b32 v[8:9], v[0:1], v[0:1] op_sel:[0,1]
.LBB8_5:                                ;   Parent Loop BB8_3 Depth=1
                                        ; =>  This Inner Loop Header: Depth=2
	v_mad_i64_i32 v[14:15], s[46:47], v7, 24, s[24:25]
	v_bfe_u32 v13, v8, 1, 4
	global_load_dword v16, v[14:15], off
	global_load_ushort v17, v[14:15], off offset:4
	global_load_ushort v18, v[14:15], off offset:6
	v_add_co_u32_e32 v14, vcc, v14, v13
	v_addc_co_u32_e32 v15, vcc, 0, v15, vcc
	global_load_ubyte v19, v[14:15], off offset:8
	v_add_co_u32_e32 v6, vcc, s34, v6
	v_addc_co_u32_e32 v7, vcc, v7, v12, vcc
	v_add_u32_e32 v20, 12, v13
	v_and_or_b32 v14, v8, s44, v13
	v_add_co_u32_e32 v8, vcc, s8, v8
	v_addc_co_u32_e32 v9, vcc, v9, v11, vcc
	v_ashrrev_i32_e32 v15, 31, v14
	v_cmp_le_i64_e32 vcc, s[28:29], v[8:9]
	v_lshlrev_b64 v[14:15], 2, v[14:15]
	s_or_b64 s[38:39], vcc, s[38:39]
	v_add_co_u32_e32 v14, vcc, s45, v14
	v_addc_co_u32_e32 v15, vcc, v10, v15, vcc
	s_waitcnt vmcnt(1)
	v_lshrrev_b16_e32 v21, 8, v18
	v_and_b32_e32 v18, 0xff, v18
	v_lshlrev_b32_e32 v21, 24, v21
	v_lshlrev_b32_e32 v18, 16, v18
	v_or3_b32 v17, v18, v17, v21
	s_waitcnt vmcnt(0)
	v_and_b32_e32 v22, 15, v19
	v_lshrrev_b16_e32 v19, 4, v19
	v_lshrrev_b32_e32 v13, v13, v17
	v_lshrrev_b32_e32 v17, v20, v17
	v_lshlrev_b32_e32 v13, 4, v13
	v_and_or_b32 v17, v17, 16, v19
	v_and_or_b32 v13, v13, 16, v22
	v_cvt_f32_ubyte0_e32 v17, v17
	v_cvt_f32_ubyte0_e32 v13, v13
	v_fma_mix_f32 v17, v16, v17, v16 op_sel:[0,0,1] op_sel_hi:[1,0,1]
	v_fma_mix_f32 v13, v16, v13, v16 op_sel:[0,0,1] op_sel_hi:[1,0,1]
	global_store_dword v[14:15], v17, off offset:64
	global_store_dword v[14:15], v13, off
	s_andn2_b64 exec, exec, s[38:39]
	s_cbranch_execnz .LBB8_5
	s_branch .LBB8_2
.LBB8_6:
	s_endpgm
	.section	.rodata,"a",@progbits
	.p2align	6, 0x0
	.amdhsa_kernel _ZL10k_get_rowsILi32ELi2EXadL_ZL15dequantize_q5_1PKvliR15HIP_vector_typeIfLj2EEEEfEvS1_PKiPT2_llS2_IjLj3EEmmmmmmmmm
		.amdhsa_group_segment_fixed_size 0
		.amdhsa_private_segment_fixed_size 0
		.amdhsa_kernarg_size 384
		.amdhsa_user_sgpr_count 6
		.amdhsa_user_sgpr_private_segment_buffer 1
		.amdhsa_user_sgpr_dispatch_ptr 0
		.amdhsa_user_sgpr_queue_ptr 0
		.amdhsa_user_sgpr_kernarg_segment_ptr 1
		.amdhsa_user_sgpr_dispatch_id 0
		.amdhsa_user_sgpr_flat_scratch_init 0
		.amdhsa_user_sgpr_kernarg_preload_length 0
		.amdhsa_user_sgpr_kernarg_preload_offset 0
		.amdhsa_user_sgpr_private_segment_size 0
		.amdhsa_uses_dynamic_stack 0
		.amdhsa_system_sgpr_private_segment_wavefront_offset 0
		.amdhsa_system_sgpr_workgroup_id_x 1
		.amdhsa_system_sgpr_workgroup_id_y 1
		.amdhsa_system_sgpr_workgroup_id_z 1
		.amdhsa_system_sgpr_workgroup_info 0
		.amdhsa_system_vgpr_workitem_id 0
		.amdhsa_next_free_vgpr 23
		.amdhsa_next_free_sgpr 48
		.amdhsa_accum_offset 24
		.amdhsa_reserve_vcc 1
		.amdhsa_reserve_flat_scratch 0
		.amdhsa_float_round_mode_32 0
		.amdhsa_float_round_mode_16_64 0
		.amdhsa_float_denorm_mode_32 3
		.amdhsa_float_denorm_mode_16_64 3
		.amdhsa_dx10_clamp 1
		.amdhsa_ieee_mode 1
		.amdhsa_fp16_overflow 0
		.amdhsa_tg_split 0
		.amdhsa_exception_fp_ieee_invalid_op 0
		.amdhsa_exception_fp_denorm_src 0
		.amdhsa_exception_fp_ieee_div_zero 0
		.amdhsa_exception_fp_ieee_overflow 0
		.amdhsa_exception_fp_ieee_underflow 0
		.amdhsa_exception_fp_ieee_inexact 0
		.amdhsa_exception_int_div_zero 0
	.end_amdhsa_kernel
	.section	.text._ZL10k_get_rowsILi32ELi2EXadL_ZL15dequantize_q5_1PKvliR15HIP_vector_typeIfLj2EEEEfEvS1_PKiPT2_llS2_IjLj3EEmmmmmmmmm,"axG",@progbits,_ZL10k_get_rowsILi32ELi2EXadL_ZL15dequantize_q5_1PKvliR15HIP_vector_typeIfLj2EEEEfEvS1_PKiPT2_llS2_IjLj3EEmmmmmmmmm,comdat
.Lfunc_end8:
	.size	_ZL10k_get_rowsILi32ELi2EXadL_ZL15dequantize_q5_1PKvliR15HIP_vector_typeIfLj2EEEEfEvS1_PKiPT2_llS2_IjLj3EEmmmmmmmmm, .Lfunc_end8-_ZL10k_get_rowsILi32ELi2EXadL_ZL15dequantize_q5_1PKvliR15HIP_vector_typeIfLj2EEEEfEvS1_PKiPT2_llS2_IjLj3EEmmmmmmmmm
                                        ; -- End function
	.section	.AMDGPU.csdata,"",@progbits
; Kernel info:
; codeLenInByte = 860
; NumSgprs: 52
; NumVgprs: 23
; NumAgprs: 0
; TotalNumVgprs: 23
; ScratchSize: 0
; MemoryBound: 0
; FloatMode: 240
; IeeeMode: 1
; LDSByteSize: 0 bytes/workgroup (compile time only)
; SGPRBlocks: 6
; VGPRBlocks: 2
; NumSGPRsForWavesPerEU: 52
; NumVGPRsForWavesPerEU: 23
; AccumOffset: 24
; Occupancy: 8
; WaveLimiterHint : 1
; COMPUTE_PGM_RSRC2:SCRATCH_EN: 0
; COMPUTE_PGM_RSRC2:USER_SGPR: 6
; COMPUTE_PGM_RSRC2:TRAP_HANDLER: 0
; COMPUTE_PGM_RSRC2:TGID_X_EN: 1
; COMPUTE_PGM_RSRC2:TGID_Y_EN: 1
; COMPUTE_PGM_RSRC2:TGID_Z_EN: 1
; COMPUTE_PGM_RSRC2:TIDIG_COMP_CNT: 0
; COMPUTE_PGM_RSRC3_GFX90A:ACCUM_OFFSET: 5
; COMPUTE_PGM_RSRC3_GFX90A:TG_SPLIT: 0
	.section	.text._ZL10k_get_rowsILi32ELi1EXadL_ZL15dequantize_q8_0PKvliR15HIP_vector_typeIfLj2EEEEfEvS1_PKiPT2_llS2_IjLj3EEmmmmmmmmm,"axG",@progbits,_ZL10k_get_rowsILi32ELi1EXadL_ZL15dequantize_q8_0PKvliR15HIP_vector_typeIfLj2EEEEfEvS1_PKiPT2_llS2_IjLj3EEmmmmmmmmm,comdat
	.globl	_ZL10k_get_rowsILi32ELi1EXadL_ZL15dequantize_q8_0PKvliR15HIP_vector_typeIfLj2EEEEfEvS1_PKiPT2_llS2_IjLj3EEmmmmmmmmm ; -- Begin function _ZL10k_get_rowsILi32ELi1EXadL_ZL15dequantize_q8_0PKvliR15HIP_vector_typeIfLj2EEEEfEvS1_PKiPT2_llS2_IjLj3EEmmmmmmmmm
	.p2align	8
	.type	_ZL10k_get_rowsILi32ELi1EXadL_ZL15dequantize_q8_0PKvliR15HIP_vector_typeIfLj2EEEEfEvS1_PKiPT2_llS2_IjLj3EEmmmmmmmmm,@function
_ZL10k_get_rowsILi32ELi1EXadL_ZL15dequantize_q8_0PKvliR15HIP_vector_typeIfLj2EEEEfEvS1_PKiPT2_llS2_IjLj3EEmmmmmmmmm: ; @_ZL10k_get_rowsILi32ELi1EXadL_ZL15dequantize_q8_0PKvliR15HIP_vector_typeIfLj2EEEEfEvS1_PKiPT2_llS2_IjLj3EEmmmmmmmmm
; %bb.0:
	s_load_dwordx4 s[28:31], s[4:5], 0x18
	s_load_dwordx2 s[2:3], s[4:5], 0x2c
	s_mov_b32 s9, 0
	v_pk_mov_b32 v[2:3], s[8:9], s[8:9] op_sel:[0,1]
	s_waitcnt lgkmcnt(0)
	s_mul_i32 s0, s3, s31
	s_mul_hi_u32 s1, s3, s30
	s_add_i32 s35, s1, s0
	s_mul_i32 s34, s3, s30
	v_cmp_le_i64_e32 vcc, s[34:35], v[2:3]
	s_cbranch_vccnz .LBB9_6
; %bb.1:
	s_load_dwordx4 s[36:39], s[4:5], 0x0
	s_load_dwordx2 s[42:43], s[4:5], 0x10
	s_load_dwordx2 s[10:11], s[4:5], 0x78
	;; [unrolled: 1-line block ×3, first 2 shown]
	s_load_dword s33, s[4:5], 0x28
	s_load_dwordx16 s[12:27], s[4:5], 0x38
	s_add_u32 s4, s4, 0x80
	s_addc_u32 s5, s5, 0
	s_waitcnt lgkmcnt(0)
	s_and_b32 s31, s31, 0xffff
	s_mul_i32 s7, s7, s31
	v_add_lshl_u32 v0, s7, v0, 1
	s_ashr_i32 s7, s6, 31
	s_mul_i32 s25, s6, s25
	s_mul_hi_u32 s40, s6, s24
	s_add_i32 s25, s40, s25
	s_mul_i32 s40, s7, s24
	s_add_i32 s25, s25, s40
	s_mul_i32 s24, s6, s24
	s_lshl_b64 s[24:25], s[24:25], 2
	s_add_u32 s40, s38, s24
	s_mul_i32 s13, s6, s13
	s_mul_hi_u32 s24, s6, s12
	s_addc_u32 s41, s39, s25
	s_add_i32 s13, s24, s13
	s_mul_i32 s7, s7, s12
	s_add_i32 s7, s13, s7
	s_mul_i32 s6, s6, s12
	s_lshl_b64 s[6:7], s[6:7], 2
	v_mov_b32_e32 v1, 0
	s_add_u32 s42, s42, s6
	v_cmp_gt_i64_e64 s[0:1], s[28:29], v[0:1]
	s_addc_u32 s43, s43, s7
	v_lshlrev_b64 v[2:3], 27, v[0:1]
	v_mov_b32_e32 v4, v1
	v_mov_b32_e32 v5, v0
	v_pk_mov_b32 v[6:7], s[34:35], s[34:35] op_sel:[0,1]
	s_mov_b64 s[6:7], s[8:9]
	s_branch .LBB9_3
.LBB9_2:                                ;   in Loop: Header=BB9_3 Depth=1
	s_or_b64 exec, exec, s[12:13]
	s_add_u32 s6, s6, s30
	s_addc_u32 s7, s7, 0
	v_cmp_ge_i64_e32 vcc, s[6:7], v[6:7]
	s_cbranch_vccnz .LBB9_6
.LBB9_3:                                ; =>This Loop Header: Depth=1
                                        ;     Child Loop BB9_5 Depth 2
	s_and_saveexec_b64 s[12:13], s[0:1]
	s_cbranch_execz .LBB9_2
; %bb.4:                                ;   in Loop: Header=BB9_3 Depth=1
	s_mul_hi_u32 s8, s6, s33
	s_add_i32 s8, s8, s6
	s_lshr_b32 s8, s8, s2
	s_mul_i32 s24, s8, s3
	s_sub_i32 s38, s6, s24
	s_ashr_i32 s39, s8, 31
	s_mul_i32 s24, s8, s27
	s_mul_hi_u32 s25, s8, s26
	s_add_i32 s24, s25, s24
	s_mul_i32 s25, s39, s26
	s_ashr_i32 s45, s38, 31
	s_mul_i32 s34, s38, s11
	s_mul_hi_u32 s35, s38, s10
	s_add_i32 s25, s24, s25
	s_mul_i32 s24, s8, s26
	s_add_i32 s34, s35, s34
	s_mul_i32 s35, s45, s10
	s_add_i32 s35, s34, s35
	s_lshl_b64 s[24:25], s[24:25], 2
	s_mul_i32 s34, s38, s10
	s_add_u32 s44, s40, s24
	s_addc_u32 s46, s41, s25
	s_lshl_b64 s[24:25], s[34:35], 2
	s_add_u32 s24, s44, s24
	s_addc_u32 s25, s46, s25
	s_load_dword s34, s[24:25], 0x0
	s_mul_i32 s24, s8, s15
	s_mul_hi_u32 s25, s8, s14
	s_add_i32 s24, s25, s24
	s_mul_i32 s25, s39, s14
	s_add_i32 s25, s24, s25
	s_mul_i32 s24, s8, s14
	s_waitcnt lgkmcnt(0)
	s_ashr_i32 s35, s34, 31
	s_lshl_b64 s[24:25], s[24:25], 2
	s_add_u32 s44, s42, s24
	s_addc_u32 s46, s43, s25
	s_mul_i32 s24, s38, s17
	s_mul_hi_u32 s25, s38, s16
	s_add_i32 s24, s25, s24
	s_mul_i32 s25, s45, s16
	s_add_i32 s25, s24, s25
	s_mul_i32 s24, s38, s16
	s_lshl_b64 s[24:25], s[24:25], 2
	s_add_u32 s44, s44, s24
	s_addc_u32 s46, s46, s25
	s_mul_i32 s24, s34, s19
	s_mul_hi_u32 s25, s34, s18
	s_add_i32 s24, s25, s24
	s_mul_i32 s35, s35, s18
	s_add_i32 s24, s24, s35
	s_mul_i32 s34, s34, s18
	s_add_u32 s25, s36, s34
	s_mul_i32 s34, s8, s21
	s_mul_hi_u32 s35, s8, s20
	s_addc_u32 s24, s37, s24
	s_add_i32 s34, s35, s34
	s_mul_i32 s39, s39, s20
	s_add_i32 s34, s34, s39
	s_mul_i32 s8, s8, s20
	s_add_u32 s8, s25, s8
	s_addc_u32 s25, s24, s34
	s_mul_i32 s24, s38, s23
	s_mul_hi_u32 s34, s38, s22
	s_add_i32 s24, s34, s24
	s_load_dword s34, s[4:5], 0x4
	s_mul_i32 s45, s45, s22
	s_add_i32 s35, s24, s45
	s_mul_i32 s38, s38, s22
	s_add_u32 s24, s8, s38
	s_waitcnt lgkmcnt(0)
	s_mul_i32 s8, s34, s31
	s_addc_u32 s25, s25, s35
	s_lshl_b64 s[34:35], s[8:9], 27
	s_mov_b64 s[38:39], 0
	v_mov_b32_e32 v14, s46
	v_mov_b32_e32 v15, s9
	;; [unrolled: 1-line block ×4, first 2 shown]
	v_pk_mov_b32 v[8:9], v[4:5], v[4:5] op_sel:[0,1]
	v_pk_mov_b32 v[10:11], v[2:3], v[2:3] op_sel:[0,1]
	v_pk_mov_b32 v[12:13], v[0:1], v[0:1] op_sel:[0,1]
.LBB9_5:                                ;   Parent Loop BB9_3 Depth=1
                                        ; =>  This Inner Loop Header: Depth=2
	v_and_b32_e32 v20, 31, v12
	v_mad_i64_i32 v[18:19], s[46:47], v11, 34, s[24:25]
	v_add_co_u32_e32 v20, vcc, v18, v20
	v_addc_co_u32_e32 v21, vcc, 0, v19, vcc
	global_load_ushort v22, v[18:19], off
	global_load_ushort v23, v[20:21], off offset:2
	v_add_co_u32_e32 v12, vcc, s8, v12
	v_addc_co_u32_e32 v13, vcc, v13, v15, vcc
	v_add_co_u32_e32 v10, vcc, s34, v10
	v_addc_co_u32_e32 v11, vcc, v11, v16, vcc
	v_ashrrev_i64 v[18:19], 30, v[8:9]
	v_add_co_u32_e32 v8, vcc, 0, v8
	v_addc_co_u32_e32 v9, vcc, v9, v17, vcc
	v_add_co_u32_e32 v18, vcc, s44, v18
	v_addc_co_u32_e32 v19, vcc, v14, v19, vcc
	v_cmp_le_i64_e32 vcc, s[28:29], v[12:13]
	s_or_b64 s[38:39], vcc, s[38:39]
	s_waitcnt vmcnt(1)
	v_cvt_f32_f16_e32 v20, v22
	s_waitcnt vmcnt(0)
	v_bfe_i32 v21, v23, 0, 8
	v_ashrrev_i16_e32 v22, 8, v23
	v_cvt_f32_i32_sdwa v23, sext(v22) dst_sel:DWORD dst_unused:UNUSED_PAD src0_sel:WORD_0
	v_cvt_f32_i32_sdwa v22, sext(v21) dst_sel:DWORD dst_unused:UNUSED_PAD src0_sel:WORD_0
	v_pk_mul_f32 v[20:21], v[20:21], v[22:23] op_sel_hi:[0,1]
	global_store_dwordx2 v[18:19], v[20:21], off
	s_andn2_b64 exec, exec, s[38:39]
	s_cbranch_execnz .LBB9_5
	s_branch .LBB9_2
.LBB9_6:
	s_endpgm
	.section	.rodata,"a",@progbits
	.p2align	6, 0x0
	.amdhsa_kernel _ZL10k_get_rowsILi32ELi1EXadL_ZL15dequantize_q8_0PKvliR15HIP_vector_typeIfLj2EEEEfEvS1_PKiPT2_llS2_IjLj3EEmmmmmmmmm
		.amdhsa_group_segment_fixed_size 0
		.amdhsa_private_segment_fixed_size 0
		.amdhsa_kernarg_size 384
		.amdhsa_user_sgpr_count 6
		.amdhsa_user_sgpr_private_segment_buffer 1
		.amdhsa_user_sgpr_dispatch_ptr 0
		.amdhsa_user_sgpr_queue_ptr 0
		.amdhsa_user_sgpr_kernarg_segment_ptr 1
		.amdhsa_user_sgpr_dispatch_id 0
		.amdhsa_user_sgpr_flat_scratch_init 0
		.amdhsa_user_sgpr_kernarg_preload_length 0
		.amdhsa_user_sgpr_kernarg_preload_offset 0
		.amdhsa_user_sgpr_private_segment_size 0
		.amdhsa_uses_dynamic_stack 0
		.amdhsa_system_sgpr_private_segment_wavefront_offset 0
		.amdhsa_system_sgpr_workgroup_id_x 1
		.amdhsa_system_sgpr_workgroup_id_y 1
		.amdhsa_system_sgpr_workgroup_id_z 1
		.amdhsa_system_sgpr_workgroup_info 0
		.amdhsa_system_vgpr_workitem_id 0
		.amdhsa_next_free_vgpr 24
		.amdhsa_next_free_sgpr 48
		.amdhsa_accum_offset 24
		.amdhsa_reserve_vcc 1
		.amdhsa_reserve_flat_scratch 0
		.amdhsa_float_round_mode_32 0
		.amdhsa_float_round_mode_16_64 0
		.amdhsa_float_denorm_mode_32 3
		.amdhsa_float_denorm_mode_16_64 3
		.amdhsa_dx10_clamp 1
		.amdhsa_ieee_mode 1
		.amdhsa_fp16_overflow 0
		.amdhsa_tg_split 0
		.amdhsa_exception_fp_ieee_invalid_op 0
		.amdhsa_exception_fp_denorm_src 0
		.amdhsa_exception_fp_ieee_div_zero 0
		.amdhsa_exception_fp_ieee_overflow 0
		.amdhsa_exception_fp_ieee_underflow 0
		.amdhsa_exception_fp_ieee_inexact 0
		.amdhsa_exception_int_div_zero 0
	.end_amdhsa_kernel
	.section	.text._ZL10k_get_rowsILi32ELi1EXadL_ZL15dequantize_q8_0PKvliR15HIP_vector_typeIfLj2EEEEfEvS1_PKiPT2_llS2_IjLj3EEmmmmmmmmm,"axG",@progbits,_ZL10k_get_rowsILi32ELi1EXadL_ZL15dequantize_q8_0PKvliR15HIP_vector_typeIfLj2EEEEfEvS1_PKiPT2_llS2_IjLj3EEmmmmmmmmm,comdat
.Lfunc_end9:
	.size	_ZL10k_get_rowsILi32ELi1EXadL_ZL15dequantize_q8_0PKvliR15HIP_vector_typeIfLj2EEEEfEvS1_PKiPT2_llS2_IjLj3EEmmmmmmmmm, .Lfunc_end9-_ZL10k_get_rowsILi32ELi1EXadL_ZL15dequantize_q8_0PKvliR15HIP_vector_typeIfLj2EEEEfEvS1_PKiPT2_llS2_IjLj3EEmmmmmmmmm
                                        ; -- End function
	.section	.AMDGPU.csdata,"",@progbits
; Kernel info:
; codeLenInByte = 792
; NumSgprs: 52
; NumVgprs: 24
; NumAgprs: 0
; TotalNumVgprs: 24
; ScratchSize: 0
; MemoryBound: 0
; FloatMode: 240
; IeeeMode: 1
; LDSByteSize: 0 bytes/workgroup (compile time only)
; SGPRBlocks: 6
; VGPRBlocks: 2
; NumSGPRsForWavesPerEU: 52
; NumVGPRsForWavesPerEU: 24
; AccumOffset: 24
; Occupancy: 8
; WaveLimiterHint : 1
; COMPUTE_PGM_RSRC2:SCRATCH_EN: 0
; COMPUTE_PGM_RSRC2:USER_SGPR: 6
; COMPUTE_PGM_RSRC2:TRAP_HANDLER: 0
; COMPUTE_PGM_RSRC2:TGID_X_EN: 1
; COMPUTE_PGM_RSRC2:TGID_Y_EN: 1
; COMPUTE_PGM_RSRC2:TGID_Z_EN: 1
; COMPUTE_PGM_RSRC2:TIDIG_COMP_CNT: 0
; COMPUTE_PGM_RSRC3_GFX90A:ACCUM_OFFSET: 5
; COMPUTE_PGM_RSRC3_GFX90A:TG_SPLIT: 0
	.section	.text._ZL16k_get_rows_floatI6__halfiEvPKT_PKiPT0_ll15HIP_vector_typeIjLj3EEmmmmmmmmm,"axG",@progbits,_ZL16k_get_rows_floatI6__halfiEvPKT_PKiPT0_ll15HIP_vector_typeIjLj3EEmmmmmmmmm,comdat
	.globl	_ZL16k_get_rows_floatI6__halfiEvPKT_PKiPT0_ll15HIP_vector_typeIjLj3EEmmmmmmmmm ; -- Begin function _ZL16k_get_rows_floatI6__halfiEvPKT_PKiPT0_ll15HIP_vector_typeIjLj3EEmmmmmmmmm
	.p2align	8
	.type	_ZL16k_get_rows_floatI6__halfiEvPKT_PKiPT0_ll15HIP_vector_typeIjLj3EEmmmmmmmmm,@function
_ZL16k_get_rows_floatI6__halfiEvPKT_PKiPT0_ll15HIP_vector_typeIjLj3EEmmmmmmmmm: ; @_ZL16k_get_rows_floatI6__halfiEvPKT_PKiPT0_ll15HIP_vector_typeIjLj3EEmmmmmmmmm
; %bb.0:
	s_load_dwordx2 s[0:1], s[4:5], 0x20
	s_load_dwordx2 s[2:3], s[4:5], 0x2c
	s_mov_b32 s9, 0
	v_pk_mov_b32 v[2:3], s[8:9], s[8:9] op_sel:[0,1]
	s_waitcnt lgkmcnt(0)
	s_mul_i32 s1, s3, s1
	s_mul_hi_u32 s10, s3, s0
	s_add_i32 s31, s10, s1
	s_mul_i32 s30, s3, s0
	v_cmp_le_i64_e32 vcc, s[30:31], v[2:3]
	s_cbranch_vccnz .LBB10_6
; %bb.1:
	s_load_dwordx8 s[36:43], s[4:5], 0x0
	s_load_dwordx2 s[10:11], s[4:5], 0x78
	s_load_dwordx2 s[28:29], s[4:5], 0x88
	s_load_dword s33, s[4:5], 0x28
	s_load_dwordx16 s[12:27], s[4:5], 0x38
	s_add_u32 s4, s4, 0x80
	s_addc_u32 s5, s5, 0
	s_waitcnt lgkmcnt(0)
	s_and_b32 s29, s29, 0xffff
	s_mul_i32 s7, s7, s29
	v_add_u32_e32 v0, s7, v0
	s_ashr_i32 s7, s6, 31
	s_mul_i32 s25, s6, s25
	s_mul_hi_u32 s34, s6, s24
	s_add_i32 s25, s34, s25
	s_mul_i32 s34, s7, s24
	s_add_i32 s25, s25, s34
	s_mul_i32 s24, s6, s24
	s_lshl_b64 s[24:25], s[24:25], 2
	s_add_u32 s38, s38, s24
	s_mul_hi_u32 s24, s12, s6
	s_mul_i32 s7, s12, s7
	s_addc_u32 s39, s39, s25
	s_add_i32 s7, s24, s7
	s_mul_i32 s13, s13, s6
	s_add_i32 s7, s7, s13
	s_mul_i32 s6, s12, s6
	s_lshl_b64 s[6:7], s[6:7], 2
	v_mov_b32_e32 v1, 0
	s_add_u32 s6, s40, s6
	v_lshlrev_b64 v[2:3], 2, v[0:1]
	s_addc_u32 s7, s41, s7
	v_mov_b32_e32 v4, s7
	v_add_co_u32_e32 v10, vcc, s6, v2
	v_addc_co_u32_e32 v11, vcc, v4, v3, vcc
	v_lshlrev_b64 v[2:3], 1, v[0:1]
	v_mov_b32_e32 v4, s37
	v_add_co_u32_e32 v12, vcc, s36, v2
	v_cmp_gt_i64_e64 s[0:1], s[42:43], v[0:1]
	s_lshl_b64 s[6:7], s[14:15], 2
	s_lshl_b64 s[12:13], s[16:17], 2
	v_addc_co_u32_e32 v13, vcc, v4, v3, vcc
	v_pk_mov_b32 v[2:3], s[30:31], s[30:31] op_sel:[0,1]
	s_mov_b64 s[14:15], s[8:9]
	s_branch .LBB10_3
.LBB10_2:                               ;   in Loop: Header=BB10_3 Depth=1
	s_or_b64 exec, exec, s[16:17]
	s_add_u32 s14, s14, s28
	s_addc_u32 s15, s15, 0
	v_cmp_lt_i64_e32 vcc, s[14:15], v[2:3]
	s_cbranch_vccz .LBB10_6
.LBB10_3:                               ; =>This Loop Header: Depth=1
                                        ;     Child Loop BB10_5 Depth 2
	s_and_saveexec_b64 s[16:17], s[0:1]
	s_cbranch_execz .LBB10_2
; %bb.4:                                ;   in Loop: Header=BB10_3 Depth=1
	s_mul_hi_u32 s8, s14, s33
	s_add_i32 s8, s8, s14
	s_lshr_b32 s34, s8, s2
	s_mul_i32 s8, s34, s3
	s_sub_i32 s35, s14, s8
	s_ashr_i32 s36, s34, 31
	s_mul_i32 s8, s34, s27
	s_mul_hi_u32 s24, s34, s26
	s_add_i32 s8, s24, s8
	s_mul_i32 s24, s36, s26
	s_add_i32 s25, s8, s24
	s_ashr_i32 s37, s35, 31
	s_mul_i32 s8, s35, s11
	s_mul_hi_u32 s30, s35, s10
	s_mul_i32 s24, s34, s26
	s_add_i32 s8, s30, s8
	s_mul_i32 s30, s37, s10
	s_add_i32 s31, s8, s30
	s_lshl_b64 s[24:25], s[24:25], 2
	s_mul_i32 s30, s35, s10
	s_add_u32 s8, s38, s24
	s_addc_u32 s40, s39, s25
	s_lshl_b64 s[24:25], s[30:31], 2
	s_load_dword s31, s[4:5], 0x4
	s_add_u32 s24, s8, s24
	s_mul_i32 s8, s34, s21
	s_mul_hi_u32 s30, s34, s20
	s_addc_u32 s25, s40, s25
	s_add_i32 s8, s30, s8
	s_mul_i32 s30, s36, s20
	s_add_i32 s40, s8, s30
	s_waitcnt lgkmcnt(0)
	s_mul_i32 s8, s31, s29
	s_mul_i32 s30, s6, s36
	s_mul_hi_u32 s31, s6, s34
	s_add_i32 s30, s31, s30
	s_mul_i32 s31, s7, s34
	s_mul_i32 s41, s34, s20
	s_add_i32 s30, s30, s31
	s_mul_i32 s31, s6, s34
	s_mul_i32 s34, s12, s37
	s_mul_hi_u32 s36, s12, s35
	s_add_i32 s34, s36, s34
	s_mul_i32 s36, s13, s35
	s_add_i32 s34, s34, s36
	s_mul_i32 s36, s12, s35
	s_add_u32 s31, s31, s36
	s_addc_u32 s30, s30, s34
	s_mul_i32 s34, s22, s37
	s_mul_hi_u32 s36, s22, s35
	s_add_i32 s34, s36, s34
	s_mul_i32 s36, s23, s35
	v_mov_b32_e32 v5, s30
	v_add_co_u32_e32 v4, vcc, s31, v10
	s_lshl_b64 s[30:31], s[8:9], 2
	s_add_i32 s34, s34, s36
	s_mul_i32 s35, s22, s35
	s_add_u32 s35, s41, s35
	v_addc_co_u32_e32 v5, vcc, v11, v5, vcc
	s_addc_u32 s34, s40, s34
	v_mov_b32_e32 v7, s34
	v_add_co_u32_e32 v6, vcc, s35, v12
	s_lshl_b64 s[34:35], s[8:9], 1
	v_addc_co_u32_e32 v7, vcc, v13, v7, vcc
	s_mov_b64 s[36:37], 0
	v_mov_b32_e32 v14, s9
	v_mov_b32_e32 v15, s31
	;; [unrolled: 1-line block ×3, first 2 shown]
	v_pk_mov_b32 v[8:9], v[0:1], v[0:1] op_sel:[0,1]
.LBB10_5:                               ;   Parent Loop BB10_3 Depth=1
                                        ; =>  This Inner Loop Header: Depth=2
	global_load_dword v17, v1, s[24:25]
	v_add_co_u32_e32 v8, vcc, s8, v8
	v_addc_co_u32_e32 v9, vcc, v9, v14, vcc
	v_cmp_le_i64_e32 vcc, s[42:43], v[8:9]
	s_or_b64 s[36:37], vcc, s[36:37]
	s_waitcnt vmcnt(0)
	v_ashrrev_i32_e32 v20, 31, v17
	v_mul_lo_u32 v21, v17, s19
	v_mad_u64_u32 v[18:19], s[40:41], v17, s18, v[6:7]
	v_mul_lo_u32 v17, v20, s18
	v_add_u32_e32 v17, v21, v17
	v_add_u32_e32 v19, v17, v19
	global_load_ushort v17, v[18:19], off
	v_add_co_u32_e32 v6, vcc, s34, v6
	v_addc_co_u32_e32 v7, vcc, v7, v16, vcc
	s_waitcnt vmcnt(0)
	v_cvt_f32_f16_e32 v17, v17
	v_cvt_i32_f32_e32 v17, v17
	global_store_dword v[4:5], v17, off
	v_add_co_u32_e32 v4, vcc, s30, v4
	v_addc_co_u32_e32 v5, vcc, v5, v15, vcc
	s_andn2_b64 exec, exec, s[36:37]
	s_cbranch_execnz .LBB10_5
	s_branch .LBB10_2
.LBB10_6:
	s_endpgm
	.section	.rodata,"a",@progbits
	.p2align	6, 0x0
	.amdhsa_kernel _ZL16k_get_rows_floatI6__halfiEvPKT_PKiPT0_ll15HIP_vector_typeIjLj3EEmmmmmmmmm
		.amdhsa_group_segment_fixed_size 0
		.amdhsa_private_segment_fixed_size 0
		.amdhsa_kernarg_size 384
		.amdhsa_user_sgpr_count 6
		.amdhsa_user_sgpr_private_segment_buffer 1
		.amdhsa_user_sgpr_dispatch_ptr 0
		.amdhsa_user_sgpr_queue_ptr 0
		.amdhsa_user_sgpr_kernarg_segment_ptr 1
		.amdhsa_user_sgpr_dispatch_id 0
		.amdhsa_user_sgpr_flat_scratch_init 0
		.amdhsa_user_sgpr_kernarg_preload_length 0
		.amdhsa_user_sgpr_kernarg_preload_offset 0
		.amdhsa_user_sgpr_private_segment_size 0
		.amdhsa_uses_dynamic_stack 0
		.amdhsa_system_sgpr_private_segment_wavefront_offset 0
		.amdhsa_system_sgpr_workgroup_id_x 1
		.amdhsa_system_sgpr_workgroup_id_y 1
		.amdhsa_system_sgpr_workgroup_id_z 1
		.amdhsa_system_sgpr_workgroup_info 0
		.amdhsa_system_vgpr_workitem_id 0
		.amdhsa_next_free_vgpr 22
		.amdhsa_next_free_sgpr 44
		.amdhsa_accum_offset 24
		.amdhsa_reserve_vcc 1
		.amdhsa_reserve_flat_scratch 0
		.amdhsa_float_round_mode_32 0
		.amdhsa_float_round_mode_16_64 0
		.amdhsa_float_denorm_mode_32 3
		.amdhsa_float_denorm_mode_16_64 3
		.amdhsa_dx10_clamp 1
		.amdhsa_ieee_mode 1
		.amdhsa_fp16_overflow 0
		.amdhsa_tg_split 0
		.amdhsa_exception_fp_ieee_invalid_op 0
		.amdhsa_exception_fp_denorm_src 0
		.amdhsa_exception_fp_ieee_div_zero 0
		.amdhsa_exception_fp_ieee_overflow 0
		.amdhsa_exception_fp_ieee_underflow 0
		.amdhsa_exception_fp_ieee_inexact 0
		.amdhsa_exception_int_div_zero 0
	.end_amdhsa_kernel
	.section	.text._ZL16k_get_rows_floatI6__halfiEvPKT_PKiPT0_ll15HIP_vector_typeIjLj3EEmmmmmmmmm,"axG",@progbits,_ZL16k_get_rows_floatI6__halfiEvPKT_PKiPT0_ll15HIP_vector_typeIjLj3EEmmmmmmmmm,comdat
.Lfunc_end10:
	.size	_ZL16k_get_rows_floatI6__halfiEvPKT_PKiPT0_ll15HIP_vector_typeIjLj3EEmmmmmmmmm, .Lfunc_end10-_ZL16k_get_rows_floatI6__halfiEvPKT_PKiPT0_ll15HIP_vector_typeIjLj3EEmmmmmmmmm
                                        ; -- End function
	.section	.AMDGPU.csdata,"",@progbits
; Kernel info:
; codeLenInByte = 716
; NumSgprs: 48
; NumVgprs: 22
; NumAgprs: 0
; TotalNumVgprs: 22
; ScratchSize: 0
; MemoryBound: 0
; FloatMode: 240
; IeeeMode: 1
; LDSByteSize: 0 bytes/workgroup (compile time only)
; SGPRBlocks: 5
; VGPRBlocks: 2
; NumSGPRsForWavesPerEU: 48
; NumVGPRsForWavesPerEU: 22
; AccumOffset: 24
; Occupancy: 8
; WaveLimiterHint : 1
; COMPUTE_PGM_RSRC2:SCRATCH_EN: 0
; COMPUTE_PGM_RSRC2:USER_SGPR: 6
; COMPUTE_PGM_RSRC2:TRAP_HANDLER: 0
; COMPUTE_PGM_RSRC2:TGID_X_EN: 1
; COMPUTE_PGM_RSRC2:TGID_Y_EN: 1
; COMPUTE_PGM_RSRC2:TGID_Z_EN: 1
; COMPUTE_PGM_RSRC2:TIDIG_COMP_CNT: 0
; COMPUTE_PGM_RSRC3_GFX90A:ACCUM_OFFSET: 5
; COMPUTE_PGM_RSRC3_GFX90A:TG_SPLIT: 0
	.section	.text._ZL16k_get_rows_floatIfiEvPKT_PKiPT0_ll15HIP_vector_typeIjLj3EEmmmmmmmmm,"axG",@progbits,_ZL16k_get_rows_floatIfiEvPKT_PKiPT0_ll15HIP_vector_typeIjLj3EEmmmmmmmmm,comdat
	.globl	_ZL16k_get_rows_floatIfiEvPKT_PKiPT0_ll15HIP_vector_typeIjLj3EEmmmmmmmmm ; -- Begin function _ZL16k_get_rows_floatIfiEvPKT_PKiPT0_ll15HIP_vector_typeIjLj3EEmmmmmmmmm
	.p2align	8
	.type	_ZL16k_get_rows_floatIfiEvPKT_PKiPT0_ll15HIP_vector_typeIjLj3EEmmmmmmmmm,@function
_ZL16k_get_rows_floatIfiEvPKT_PKiPT0_ll15HIP_vector_typeIjLj3EEmmmmmmmmm: ; @_ZL16k_get_rows_floatIfiEvPKT_PKiPT0_ll15HIP_vector_typeIjLj3EEmmmmmmmmm
; %bb.0:
	s_load_dwordx2 s[0:1], s[4:5], 0x20
	s_load_dwordx2 s[2:3], s[4:5], 0x2c
	s_mov_b32 s9, 0
	v_pk_mov_b32 v[2:3], s[8:9], s[8:9] op_sel:[0,1]
	s_waitcnt lgkmcnt(0)
	s_mul_i32 s1, s3, s1
	s_mul_hi_u32 s10, s3, s0
	s_add_i32 s31, s10, s1
	s_mul_i32 s30, s3, s0
	v_cmp_le_i64_e32 vcc, s[30:31], v[2:3]
	s_cbranch_vccnz .LBB11_6
; %bb.1:
	s_load_dwordx8 s[36:43], s[4:5], 0x0
	s_load_dwordx2 s[10:11], s[4:5], 0x78
	s_load_dwordx2 s[28:29], s[4:5], 0x88
	s_load_dword s33, s[4:5], 0x28
	s_load_dwordx16 s[12:27], s[4:5], 0x38
	s_add_u32 s4, s4, 0x80
	s_addc_u32 s5, s5, 0
	s_waitcnt lgkmcnt(0)
	s_and_b32 s29, s29, 0xffff
	s_mul_i32 s7, s7, s29
	v_add_u32_e32 v0, s7, v0
	s_ashr_i32 s7, s6, 31
	s_mul_i32 s25, s6, s25
	s_mul_hi_u32 s34, s6, s24
	s_add_i32 s25, s34, s25
	s_mul_i32 s34, s7, s24
	s_add_i32 s25, s25, s34
	s_mul_i32 s24, s6, s24
	s_lshl_b64 s[24:25], s[24:25], 2
	s_add_u32 s38, s38, s24
	s_mul_hi_u32 s24, s12, s6
	s_mul_i32 s7, s12, s7
	s_addc_u32 s39, s39, s25
	s_add_i32 s7, s24, s7
	s_mul_i32 s13, s13, s6
	s_add_i32 s7, s7, s13
	s_mul_i32 s6, s12, s6
	s_lshl_b64 s[6:7], s[6:7], 2
	v_mov_b32_e32 v1, 0
	s_add_u32 s6, s40, s6
	v_lshlrev_b64 v[2:3], 2, v[0:1]
	s_addc_u32 s7, s41, s7
	v_mov_b32_e32 v4, s7
	v_add_co_u32_e32 v6, vcc, s6, v2
	v_addc_co_u32_e32 v7, vcc, v4, v3, vcc
	v_mov_b32_e32 v4, s37
	v_add_co_u32_e32 v8, vcc, s36, v2
	v_cmp_gt_i64_e64 s[0:1], s[42:43], v[0:1]
	s_lshl_b64 s[6:7], s[14:15], 2
	s_lshl_b64 s[12:13], s[16:17], 2
	v_addc_co_u32_e32 v9, vcc, v4, v3, vcc
	v_pk_mov_b32 v[2:3], s[30:31], s[30:31] op_sel:[0,1]
	s_mov_b64 s[14:15], s[8:9]
	s_branch .LBB11_3
.LBB11_2:                               ;   in Loop: Header=BB11_3 Depth=1
	s_or_b64 exec, exec, s[16:17]
	s_add_u32 s14, s14, s28
	s_addc_u32 s15, s15, 0
	v_cmp_lt_i64_e32 vcc, s[14:15], v[2:3]
	s_cbranch_vccz .LBB11_6
.LBB11_3:                               ; =>This Loop Header: Depth=1
                                        ;     Child Loop BB11_5 Depth 2
	s_and_saveexec_b64 s[16:17], s[0:1]
	s_cbranch_execz .LBB11_2
; %bb.4:                                ;   in Loop: Header=BB11_3 Depth=1
	s_mul_hi_u32 s8, s14, s33
	s_add_i32 s8, s8, s14
	s_lshr_b32 s34, s8, s2
	s_mul_i32 s8, s34, s3
	s_sub_i32 s35, s14, s8
	s_ashr_i32 s36, s34, 31
	s_mul_i32 s8, s34, s27
	s_mul_hi_u32 s24, s34, s26
	s_add_i32 s8, s24, s8
	s_mul_i32 s24, s36, s26
	s_add_i32 s25, s8, s24
	s_ashr_i32 s37, s35, 31
	s_mul_i32 s8, s35, s11
	s_mul_hi_u32 s30, s35, s10
	s_mul_i32 s24, s34, s26
	s_add_i32 s8, s30, s8
	s_mul_i32 s30, s37, s10
	s_add_i32 s31, s8, s30
	s_lshl_b64 s[24:25], s[24:25], 2
	s_mul_i32 s30, s35, s10
	s_add_u32 s8, s38, s24
	s_addc_u32 s40, s39, s25
	s_lshl_b64 s[24:25], s[30:31], 2
	s_load_dword s31, s[4:5], 0x4
	s_add_u32 s24, s8, s24
	s_mul_i32 s8, s34, s21
	s_mul_hi_u32 s30, s34, s20
	s_addc_u32 s25, s40, s25
	s_add_i32 s8, s30, s8
	s_mul_i32 s30, s36, s20
	s_add_i32 s40, s8, s30
	s_waitcnt lgkmcnt(0)
	s_mul_i32 s8, s31, s29
	s_mul_i32 s30, s6, s36
	s_mul_hi_u32 s31, s6, s34
	s_add_i32 s30, s31, s30
	s_mul_i32 s31, s7, s34
	s_mul_i32 s41, s34, s20
	s_add_i32 s30, s30, s31
	s_mul_i32 s31, s6, s34
	s_mul_i32 s34, s12, s37
	s_mul_hi_u32 s36, s12, s35
	s_add_i32 s34, s36, s34
	s_mul_i32 s36, s13, s35
	s_add_i32 s34, s34, s36
	s_mul_i32 s36, s12, s35
	s_add_u32 s31, s31, s36
	s_addc_u32 s30, s30, s34
	s_mul_i32 s34, s22, s37
	s_mul_hi_u32 s36, s22, s35
	s_add_i32 s34, s36, s34
	s_mul_i32 s36, s23, s35
	v_mov_b32_e32 v4, s30
	v_add_co_u32_e32 v10, vcc, s31, v6
	s_lshl_b64 s[30:31], s[8:9], 2
	s_add_i32 s34, s34, s36
	s_mul_i32 s35, s22, s35
	s_add_u32 s35, s41, s35
	v_addc_co_u32_e32 v11, vcc, v7, v4, vcc
	s_addc_u32 s34, s40, s34
	v_mov_b32_e32 v4, s34
	v_add_co_u32_e32 v12, vcc, s35, v8
	v_addc_co_u32_e32 v13, vcc, v9, v4, vcc
	s_mov_b64 s[34:35], 0
	v_mov_b32_e32 v14, s9
	s_mov_b64 s[36:37], 0
	v_pk_mov_b32 v[4:5], v[0:1], v[0:1] op_sel:[0,1]
.LBB11_5:                               ;   Parent Loop BB11_3 Depth=1
                                        ; =>  This Inner Loop Header: Depth=2
	global_load_dword v15, v1, s[24:25]
	v_mov_b32_e32 v16, s37
	s_waitcnt vmcnt(0)
	v_ashrrev_i32_e32 v17, 31, v15
	v_mul_lo_u32 v18, v15, s19
	v_mul_hi_u32 v19, v15, s18
	v_mul_lo_u32 v15, v15, s18
	v_add_u32_e32 v18, v19, v18
	v_mul_lo_u32 v17, v17, s18
	v_add_u32_e32 v17, v18, v17
	v_add_co_u32_e32 v15, vcc, s36, v15
	v_addc_co_u32_e32 v17, vcc, v16, v17, vcc
	v_add_co_u32_e32 v16, vcc, v12, v15
	v_addc_co_u32_e32 v17, vcc, v13, v17, vcc
	global_load_dword v15, v[16:17], off
	v_add_co_u32_e32 v4, vcc, s8, v4
	v_addc_co_u32_e32 v5, vcc, v5, v14, vcc
	v_mov_b32_e32 v17, s37
	v_add_co_u32_e32 v16, vcc, s36, v10
	v_addc_co_u32_e32 v17, vcc, v11, v17, vcc
	s_add_u32 s36, s36, s30
	v_cmp_le_i64_e32 vcc, s[42:43], v[4:5]
	s_addc_u32 s37, s37, s31
	s_or_b64 s[34:35], vcc, s[34:35]
	s_waitcnt vmcnt(0)
	v_cvt_i32_f32_e32 v15, v15
	global_store_dword v[16:17], v15, off
	s_andn2_b64 exec, exec, s[34:35]
	s_cbranch_execnz .LBB11_5
	s_branch .LBB11_2
.LBB11_6:
	s_endpgm
	.section	.rodata,"a",@progbits
	.p2align	6, 0x0
	.amdhsa_kernel _ZL16k_get_rows_floatIfiEvPKT_PKiPT0_ll15HIP_vector_typeIjLj3EEmmmmmmmmm
		.amdhsa_group_segment_fixed_size 0
		.amdhsa_private_segment_fixed_size 0
		.amdhsa_kernarg_size 384
		.amdhsa_user_sgpr_count 6
		.amdhsa_user_sgpr_private_segment_buffer 1
		.amdhsa_user_sgpr_dispatch_ptr 0
		.amdhsa_user_sgpr_queue_ptr 0
		.amdhsa_user_sgpr_kernarg_segment_ptr 1
		.amdhsa_user_sgpr_dispatch_id 0
		.amdhsa_user_sgpr_flat_scratch_init 0
		.amdhsa_user_sgpr_kernarg_preload_length 0
		.amdhsa_user_sgpr_kernarg_preload_offset 0
		.amdhsa_user_sgpr_private_segment_size 0
		.amdhsa_uses_dynamic_stack 0
		.amdhsa_system_sgpr_private_segment_wavefront_offset 0
		.amdhsa_system_sgpr_workgroup_id_x 1
		.amdhsa_system_sgpr_workgroup_id_y 1
		.amdhsa_system_sgpr_workgroup_id_z 1
		.amdhsa_system_sgpr_workgroup_info 0
		.amdhsa_system_vgpr_workitem_id 0
		.amdhsa_next_free_vgpr 20
		.amdhsa_next_free_sgpr 44
		.amdhsa_accum_offset 20
		.amdhsa_reserve_vcc 1
		.amdhsa_reserve_flat_scratch 0
		.amdhsa_float_round_mode_32 0
		.amdhsa_float_round_mode_16_64 0
		.amdhsa_float_denorm_mode_32 3
		.amdhsa_float_denorm_mode_16_64 3
		.amdhsa_dx10_clamp 1
		.amdhsa_ieee_mode 1
		.amdhsa_fp16_overflow 0
		.amdhsa_tg_split 0
		.amdhsa_exception_fp_ieee_invalid_op 0
		.amdhsa_exception_fp_denorm_src 0
		.amdhsa_exception_fp_ieee_div_zero 0
		.amdhsa_exception_fp_ieee_overflow 0
		.amdhsa_exception_fp_ieee_underflow 0
		.amdhsa_exception_fp_ieee_inexact 0
		.amdhsa_exception_int_div_zero 0
	.end_amdhsa_kernel
	.section	.text._ZL16k_get_rows_floatIfiEvPKT_PKiPT0_ll15HIP_vector_typeIjLj3EEmmmmmmmmm,"axG",@progbits,_ZL16k_get_rows_floatIfiEvPKT_PKiPT0_ll15HIP_vector_typeIjLj3EEmmmmmmmmm,comdat
.Lfunc_end11:
	.size	_ZL16k_get_rows_floatIfiEvPKT_PKiPT0_ll15HIP_vector_typeIjLj3EEmmmmmmmmm, .Lfunc_end11-_ZL16k_get_rows_floatIfiEvPKT_PKiPT0_ll15HIP_vector_typeIjLj3EEmmmmmmmmm
                                        ; -- End function
	.section	.AMDGPU.csdata,"",@progbits
; Kernel info:
; codeLenInByte = 728
; NumSgprs: 48
; NumVgprs: 20
; NumAgprs: 0
; TotalNumVgprs: 20
; ScratchSize: 0
; MemoryBound: 0
; FloatMode: 240
; IeeeMode: 1
; LDSByteSize: 0 bytes/workgroup (compile time only)
; SGPRBlocks: 5
; VGPRBlocks: 2
; NumSGPRsForWavesPerEU: 48
; NumVGPRsForWavesPerEU: 20
; AccumOffset: 20
; Occupancy: 8
; WaveLimiterHint : 1
; COMPUTE_PGM_RSRC2:SCRATCH_EN: 0
; COMPUTE_PGM_RSRC2:USER_SGPR: 6
; COMPUTE_PGM_RSRC2:TRAP_HANDLER: 0
; COMPUTE_PGM_RSRC2:TGID_X_EN: 1
; COMPUTE_PGM_RSRC2:TGID_Y_EN: 1
; COMPUTE_PGM_RSRC2:TGID_Z_EN: 1
; COMPUTE_PGM_RSRC2:TIDIG_COMP_CNT: 0
; COMPUTE_PGM_RSRC3_GFX90A:ACCUM_OFFSET: 4
; COMPUTE_PGM_RSRC3_GFX90A:TG_SPLIT: 0
	.section	.text._ZL16k_get_rows_floatIiiEvPKT_PKiPT0_ll15HIP_vector_typeIjLj3EEmmmmmmmmm,"axG",@progbits,_ZL16k_get_rows_floatIiiEvPKT_PKiPT0_ll15HIP_vector_typeIjLj3EEmmmmmmmmm,comdat
	.globl	_ZL16k_get_rows_floatIiiEvPKT_PKiPT0_ll15HIP_vector_typeIjLj3EEmmmmmmmmm ; -- Begin function _ZL16k_get_rows_floatIiiEvPKT_PKiPT0_ll15HIP_vector_typeIjLj3EEmmmmmmmmm
	.p2align	8
	.type	_ZL16k_get_rows_floatIiiEvPKT_PKiPT0_ll15HIP_vector_typeIjLj3EEmmmmmmmmm,@function
_ZL16k_get_rows_floatIiiEvPKT_PKiPT0_ll15HIP_vector_typeIjLj3EEmmmmmmmmm: ; @_ZL16k_get_rows_floatIiiEvPKT_PKiPT0_ll15HIP_vector_typeIjLj3EEmmmmmmmmm
; %bb.0:
	s_load_dwordx2 s[0:1], s[4:5], 0x20
	s_load_dwordx2 s[2:3], s[4:5], 0x2c
	s_mov_b32 s9, 0
	v_pk_mov_b32 v[2:3], s[8:9], s[8:9] op_sel:[0,1]
	s_waitcnt lgkmcnt(0)
	s_mul_i32 s1, s3, s1
	s_mul_hi_u32 s10, s3, s0
	s_add_i32 s31, s10, s1
	s_mul_i32 s30, s3, s0
	v_cmp_le_i64_e32 vcc, s[30:31], v[2:3]
	s_cbranch_vccnz .LBB12_6
; %bb.1:
	s_load_dwordx8 s[36:43], s[4:5], 0x0
	s_load_dwordx2 s[10:11], s[4:5], 0x78
	s_load_dwordx2 s[28:29], s[4:5], 0x88
	s_load_dword s33, s[4:5], 0x28
	s_load_dwordx16 s[12:27], s[4:5], 0x38
	s_add_u32 s4, s4, 0x80
	s_addc_u32 s5, s5, 0
	s_waitcnt lgkmcnt(0)
	s_and_b32 s29, s29, 0xffff
	s_mul_i32 s7, s7, s29
	v_add_u32_e32 v0, s7, v0
	s_ashr_i32 s7, s6, 31
	s_mul_i32 s25, s6, s25
	s_mul_hi_u32 s34, s6, s24
	s_add_i32 s25, s34, s25
	s_mul_i32 s34, s7, s24
	s_add_i32 s25, s25, s34
	s_mul_i32 s24, s6, s24
	s_lshl_b64 s[24:25], s[24:25], 2
	s_add_u32 s38, s38, s24
	s_mul_hi_u32 s24, s12, s6
	s_mul_i32 s7, s12, s7
	s_addc_u32 s39, s39, s25
	s_add_i32 s7, s24, s7
	s_mul_i32 s13, s13, s6
	s_add_i32 s7, s7, s13
	s_mul_i32 s6, s12, s6
	s_lshl_b64 s[6:7], s[6:7], 2
	v_mov_b32_e32 v1, 0
	s_add_u32 s6, s40, s6
	v_lshlrev_b64 v[2:3], 2, v[0:1]
	s_addc_u32 s7, s41, s7
	v_mov_b32_e32 v4, s7
	v_add_co_u32_e32 v6, vcc, s6, v2
	v_addc_co_u32_e32 v7, vcc, v4, v3, vcc
	v_mov_b32_e32 v4, s37
	v_add_co_u32_e32 v8, vcc, s36, v2
	v_cmp_gt_i64_e64 s[0:1], s[42:43], v[0:1]
	s_lshl_b64 s[6:7], s[14:15], 2
	s_lshl_b64 s[12:13], s[16:17], 2
	v_addc_co_u32_e32 v9, vcc, v4, v3, vcc
	v_pk_mov_b32 v[2:3], s[30:31], s[30:31] op_sel:[0,1]
	s_mov_b64 s[14:15], s[8:9]
	s_branch .LBB12_3
.LBB12_2:                               ;   in Loop: Header=BB12_3 Depth=1
	s_or_b64 exec, exec, s[16:17]
	s_add_u32 s14, s14, s28
	s_addc_u32 s15, s15, 0
	v_cmp_lt_i64_e32 vcc, s[14:15], v[2:3]
	s_cbranch_vccz .LBB12_6
.LBB12_3:                               ; =>This Loop Header: Depth=1
                                        ;     Child Loop BB12_5 Depth 2
	s_and_saveexec_b64 s[16:17], s[0:1]
	s_cbranch_execz .LBB12_2
; %bb.4:                                ;   in Loop: Header=BB12_3 Depth=1
	s_mul_hi_u32 s8, s14, s33
	s_add_i32 s8, s8, s14
	s_lshr_b32 s34, s8, s2
	s_mul_i32 s8, s34, s3
	s_sub_i32 s35, s14, s8
	s_ashr_i32 s36, s34, 31
	s_mul_i32 s8, s34, s27
	s_mul_hi_u32 s24, s34, s26
	s_add_i32 s8, s24, s8
	s_mul_i32 s24, s36, s26
	s_add_i32 s25, s8, s24
	s_ashr_i32 s37, s35, 31
	s_mul_i32 s8, s35, s11
	s_mul_hi_u32 s30, s35, s10
	s_mul_i32 s24, s34, s26
	s_add_i32 s8, s30, s8
	s_mul_i32 s30, s37, s10
	s_add_i32 s31, s8, s30
	s_lshl_b64 s[24:25], s[24:25], 2
	s_mul_i32 s30, s35, s10
	s_add_u32 s8, s38, s24
	s_addc_u32 s40, s39, s25
	s_lshl_b64 s[24:25], s[30:31], 2
	s_load_dword s31, s[4:5], 0x4
	s_add_u32 s24, s8, s24
	s_mul_i32 s8, s34, s21
	s_mul_hi_u32 s30, s34, s20
	s_addc_u32 s25, s40, s25
	s_add_i32 s8, s30, s8
	s_mul_i32 s30, s36, s20
	s_add_i32 s40, s8, s30
	s_waitcnt lgkmcnt(0)
	s_mul_i32 s8, s31, s29
	s_mul_i32 s30, s6, s36
	s_mul_hi_u32 s31, s6, s34
	s_add_i32 s30, s31, s30
	s_mul_i32 s31, s7, s34
	s_mul_i32 s41, s34, s20
	s_add_i32 s30, s30, s31
	s_mul_i32 s31, s6, s34
	s_mul_i32 s34, s12, s37
	s_mul_hi_u32 s36, s12, s35
	s_add_i32 s34, s36, s34
	s_mul_i32 s36, s13, s35
	s_add_i32 s34, s34, s36
	s_mul_i32 s36, s12, s35
	s_add_u32 s31, s31, s36
	s_addc_u32 s30, s30, s34
	s_mul_i32 s34, s22, s37
	s_mul_hi_u32 s36, s22, s35
	s_add_i32 s34, s36, s34
	s_mul_i32 s36, s23, s35
	v_mov_b32_e32 v4, s30
	v_add_co_u32_e32 v10, vcc, s31, v6
	s_lshl_b64 s[30:31], s[8:9], 2
	s_add_i32 s34, s34, s36
	s_mul_i32 s35, s22, s35
	s_add_u32 s35, s41, s35
	v_addc_co_u32_e32 v11, vcc, v7, v4, vcc
	s_addc_u32 s34, s40, s34
	v_mov_b32_e32 v4, s34
	v_add_co_u32_e32 v12, vcc, s35, v8
	v_addc_co_u32_e32 v13, vcc, v9, v4, vcc
	s_mov_b64 s[34:35], 0
	v_mov_b32_e32 v14, s9
	s_mov_b64 s[36:37], 0
	v_pk_mov_b32 v[4:5], v[0:1], v[0:1] op_sel:[0,1]
.LBB12_5:                               ;   Parent Loop BB12_3 Depth=1
                                        ; =>  This Inner Loop Header: Depth=2
	global_load_dword v15, v1, s[24:25]
	v_mov_b32_e32 v16, s37
	s_waitcnt vmcnt(0)
	v_ashrrev_i32_e32 v17, 31, v15
	v_mul_lo_u32 v18, v15, s19
	v_mul_hi_u32 v19, v15, s18
	v_mul_lo_u32 v15, v15, s18
	v_add_u32_e32 v18, v19, v18
	v_mul_lo_u32 v17, v17, s18
	v_add_u32_e32 v17, v18, v17
	v_add_co_u32_e32 v15, vcc, s36, v15
	v_addc_co_u32_e32 v17, vcc, v16, v17, vcc
	v_add_co_u32_e32 v16, vcc, v12, v15
	v_addc_co_u32_e32 v17, vcc, v13, v17, vcc
	global_load_dword v15, v[16:17], off
	v_add_co_u32_e32 v4, vcc, s8, v4
	v_addc_co_u32_e32 v5, vcc, v5, v14, vcc
	v_mov_b32_e32 v17, s37
	v_add_co_u32_e32 v16, vcc, s36, v10
	v_addc_co_u32_e32 v17, vcc, v11, v17, vcc
	s_add_u32 s36, s36, s30
	v_cmp_le_i64_e32 vcc, s[42:43], v[4:5]
	s_addc_u32 s37, s37, s31
	s_or_b64 s[34:35], vcc, s[34:35]
	s_waitcnt vmcnt(0)
	global_store_dword v[16:17], v15, off
	s_andn2_b64 exec, exec, s[34:35]
	s_cbranch_execnz .LBB12_5
	s_branch .LBB12_2
.LBB12_6:
	s_endpgm
	.section	.rodata,"a",@progbits
	.p2align	6, 0x0
	.amdhsa_kernel _ZL16k_get_rows_floatIiiEvPKT_PKiPT0_ll15HIP_vector_typeIjLj3EEmmmmmmmmm
		.amdhsa_group_segment_fixed_size 0
		.amdhsa_private_segment_fixed_size 0
		.amdhsa_kernarg_size 384
		.amdhsa_user_sgpr_count 6
		.amdhsa_user_sgpr_private_segment_buffer 1
		.amdhsa_user_sgpr_dispatch_ptr 0
		.amdhsa_user_sgpr_queue_ptr 0
		.amdhsa_user_sgpr_kernarg_segment_ptr 1
		.amdhsa_user_sgpr_dispatch_id 0
		.amdhsa_user_sgpr_flat_scratch_init 0
		.amdhsa_user_sgpr_kernarg_preload_length 0
		.amdhsa_user_sgpr_kernarg_preload_offset 0
		.amdhsa_user_sgpr_private_segment_size 0
		.amdhsa_uses_dynamic_stack 0
		.amdhsa_system_sgpr_private_segment_wavefront_offset 0
		.amdhsa_system_sgpr_workgroup_id_x 1
		.amdhsa_system_sgpr_workgroup_id_y 1
		.amdhsa_system_sgpr_workgroup_id_z 1
		.amdhsa_system_sgpr_workgroup_info 0
		.amdhsa_system_vgpr_workitem_id 0
		.amdhsa_next_free_vgpr 20
		.amdhsa_next_free_sgpr 44
		.amdhsa_accum_offset 20
		.amdhsa_reserve_vcc 1
		.amdhsa_reserve_flat_scratch 0
		.amdhsa_float_round_mode_32 0
		.amdhsa_float_round_mode_16_64 0
		.amdhsa_float_denorm_mode_32 3
		.amdhsa_float_denorm_mode_16_64 3
		.amdhsa_dx10_clamp 1
		.amdhsa_ieee_mode 1
		.amdhsa_fp16_overflow 0
		.amdhsa_tg_split 0
		.amdhsa_exception_fp_ieee_invalid_op 0
		.amdhsa_exception_fp_denorm_src 0
		.amdhsa_exception_fp_ieee_div_zero 0
		.amdhsa_exception_fp_ieee_overflow 0
		.amdhsa_exception_fp_ieee_underflow 0
		.amdhsa_exception_fp_ieee_inexact 0
		.amdhsa_exception_int_div_zero 0
	.end_amdhsa_kernel
	.section	.text._ZL16k_get_rows_floatIiiEvPKT_PKiPT0_ll15HIP_vector_typeIjLj3EEmmmmmmmmm,"axG",@progbits,_ZL16k_get_rows_floatIiiEvPKT_PKiPT0_ll15HIP_vector_typeIjLj3EEmmmmmmmmm,comdat
.Lfunc_end12:
	.size	_ZL16k_get_rows_floatIiiEvPKT_PKiPT0_ll15HIP_vector_typeIjLj3EEmmmmmmmmm, .Lfunc_end12-_ZL16k_get_rows_floatIiiEvPKT_PKiPT0_ll15HIP_vector_typeIjLj3EEmmmmmmmmm
                                        ; -- End function
	.section	.AMDGPU.csdata,"",@progbits
; Kernel info:
; codeLenInByte = 724
; NumSgprs: 48
; NumVgprs: 20
; NumAgprs: 0
; TotalNumVgprs: 20
; ScratchSize: 0
; MemoryBound: 0
; FloatMode: 240
; IeeeMode: 1
; LDSByteSize: 0 bytes/workgroup (compile time only)
; SGPRBlocks: 5
; VGPRBlocks: 2
; NumSGPRsForWavesPerEU: 48
; NumVGPRsForWavesPerEU: 20
; AccumOffset: 20
; Occupancy: 8
; WaveLimiterHint : 1
; COMPUTE_PGM_RSRC2:SCRATCH_EN: 0
; COMPUTE_PGM_RSRC2:USER_SGPR: 6
; COMPUTE_PGM_RSRC2:TRAP_HANDLER: 0
; COMPUTE_PGM_RSRC2:TGID_X_EN: 1
; COMPUTE_PGM_RSRC2:TGID_Y_EN: 1
; COMPUTE_PGM_RSRC2:TGID_Z_EN: 1
; COMPUTE_PGM_RSRC2:TIDIG_COMP_CNT: 0
; COMPUTE_PGM_RSRC3_GFX90A:ACCUM_OFFSET: 4
; COMPUTE_PGM_RSRC3_GFX90A:TG_SPLIT: 0
	.section	.text._ZL16k_get_rows_floatI14__hip_bfloat16iEvPKT_PKiPT0_ll15HIP_vector_typeIjLj3EEmmmmmmmmm,"axG",@progbits,_ZL16k_get_rows_floatI14__hip_bfloat16iEvPKT_PKiPT0_ll15HIP_vector_typeIjLj3EEmmmmmmmmm,comdat
	.globl	_ZL16k_get_rows_floatI14__hip_bfloat16iEvPKT_PKiPT0_ll15HIP_vector_typeIjLj3EEmmmmmmmmm ; -- Begin function _ZL16k_get_rows_floatI14__hip_bfloat16iEvPKT_PKiPT0_ll15HIP_vector_typeIjLj3EEmmmmmmmmm
	.p2align	8
	.type	_ZL16k_get_rows_floatI14__hip_bfloat16iEvPKT_PKiPT0_ll15HIP_vector_typeIjLj3EEmmmmmmmmm,@function
_ZL16k_get_rows_floatI14__hip_bfloat16iEvPKT_PKiPT0_ll15HIP_vector_typeIjLj3EEmmmmmmmmm: ; @_ZL16k_get_rows_floatI14__hip_bfloat16iEvPKT_PKiPT0_ll15HIP_vector_typeIjLj3EEmmmmmmmmm
; %bb.0:
	s_load_dwordx2 s[0:1], s[4:5], 0x20
	s_load_dwordx2 s[2:3], s[4:5], 0x2c
	s_mov_b32 s9, 0
	v_pk_mov_b32 v[2:3], s[8:9], s[8:9] op_sel:[0,1]
	s_waitcnt lgkmcnt(0)
	s_mul_i32 s1, s3, s1
	s_mul_hi_u32 s10, s3, s0
	s_add_i32 s31, s10, s1
	s_mul_i32 s30, s3, s0
	v_cmp_le_i64_e32 vcc, s[30:31], v[2:3]
	s_cbranch_vccnz .LBB13_6
; %bb.1:
	s_load_dwordx8 s[36:43], s[4:5], 0x0
	s_load_dwordx2 s[10:11], s[4:5], 0x78
	s_load_dwordx2 s[28:29], s[4:5], 0x88
	s_load_dword s33, s[4:5], 0x28
	s_load_dwordx16 s[12:27], s[4:5], 0x38
	s_add_u32 s4, s4, 0x80
	s_addc_u32 s5, s5, 0
	s_waitcnt lgkmcnt(0)
	s_and_b32 s29, s29, 0xffff
	s_mul_i32 s7, s7, s29
	v_add_u32_e32 v0, s7, v0
	s_ashr_i32 s7, s6, 31
	s_mul_i32 s25, s6, s25
	s_mul_hi_u32 s34, s6, s24
	s_add_i32 s25, s34, s25
	s_mul_i32 s34, s7, s24
	s_add_i32 s25, s25, s34
	s_mul_i32 s24, s6, s24
	s_lshl_b64 s[24:25], s[24:25], 2
	s_add_u32 s38, s38, s24
	s_mul_hi_u32 s24, s12, s6
	s_mul_i32 s7, s12, s7
	s_addc_u32 s39, s39, s25
	s_add_i32 s7, s24, s7
	s_mul_i32 s13, s13, s6
	s_add_i32 s7, s7, s13
	s_mul_i32 s6, s12, s6
	s_lshl_b64 s[6:7], s[6:7], 2
	v_mov_b32_e32 v1, 0
	s_add_u32 s6, s40, s6
	v_lshlrev_b64 v[2:3], 2, v[0:1]
	s_addc_u32 s7, s41, s7
	v_mov_b32_e32 v4, s7
	v_add_co_u32_e32 v10, vcc, s6, v2
	v_addc_co_u32_e32 v11, vcc, v4, v3, vcc
	v_lshlrev_b64 v[2:3], 1, v[0:1]
	v_mov_b32_e32 v4, s37
	v_add_co_u32_e32 v12, vcc, s36, v2
	v_cmp_gt_i64_e64 s[0:1], s[42:43], v[0:1]
	s_lshl_b64 s[6:7], s[14:15], 2
	s_lshl_b64 s[12:13], s[16:17], 2
	v_addc_co_u32_e32 v13, vcc, v4, v3, vcc
	v_pk_mov_b32 v[2:3], s[30:31], s[30:31] op_sel:[0,1]
	s_mov_b64 s[14:15], s[8:9]
	s_branch .LBB13_3
.LBB13_2:                               ;   in Loop: Header=BB13_3 Depth=1
	s_or_b64 exec, exec, s[16:17]
	s_add_u32 s14, s14, s28
	s_addc_u32 s15, s15, 0
	v_cmp_lt_i64_e32 vcc, s[14:15], v[2:3]
	s_cbranch_vccz .LBB13_6
.LBB13_3:                               ; =>This Loop Header: Depth=1
                                        ;     Child Loop BB13_5 Depth 2
	s_and_saveexec_b64 s[16:17], s[0:1]
	s_cbranch_execz .LBB13_2
; %bb.4:                                ;   in Loop: Header=BB13_3 Depth=1
	s_mul_hi_u32 s8, s14, s33
	s_add_i32 s8, s8, s14
	s_lshr_b32 s34, s8, s2
	s_mul_i32 s8, s34, s3
	s_sub_i32 s35, s14, s8
	s_ashr_i32 s36, s34, 31
	s_mul_i32 s8, s34, s27
	s_mul_hi_u32 s24, s34, s26
	s_add_i32 s8, s24, s8
	s_mul_i32 s24, s36, s26
	s_add_i32 s25, s8, s24
	s_ashr_i32 s37, s35, 31
	s_mul_i32 s8, s35, s11
	s_mul_hi_u32 s30, s35, s10
	s_mul_i32 s24, s34, s26
	s_add_i32 s8, s30, s8
	s_mul_i32 s30, s37, s10
	s_add_i32 s31, s8, s30
	s_lshl_b64 s[24:25], s[24:25], 2
	s_mul_i32 s30, s35, s10
	s_add_u32 s8, s38, s24
	s_addc_u32 s40, s39, s25
	s_lshl_b64 s[24:25], s[30:31], 2
	s_load_dword s31, s[4:5], 0x4
	s_add_u32 s24, s8, s24
	s_mul_i32 s8, s34, s21
	s_mul_hi_u32 s30, s34, s20
	s_addc_u32 s25, s40, s25
	s_add_i32 s8, s30, s8
	s_mul_i32 s30, s36, s20
	s_add_i32 s40, s8, s30
	s_waitcnt lgkmcnt(0)
	s_mul_i32 s8, s31, s29
	s_mul_i32 s30, s6, s36
	s_mul_hi_u32 s31, s6, s34
	s_add_i32 s30, s31, s30
	s_mul_i32 s31, s7, s34
	s_mul_i32 s41, s34, s20
	s_add_i32 s30, s30, s31
	s_mul_i32 s31, s6, s34
	s_mul_i32 s34, s12, s37
	s_mul_hi_u32 s36, s12, s35
	s_add_i32 s34, s36, s34
	s_mul_i32 s36, s13, s35
	s_add_i32 s34, s34, s36
	s_mul_i32 s36, s12, s35
	s_add_u32 s31, s31, s36
	s_addc_u32 s30, s30, s34
	s_mul_i32 s34, s22, s37
	s_mul_hi_u32 s36, s22, s35
	s_add_i32 s34, s36, s34
	s_mul_i32 s36, s23, s35
	v_mov_b32_e32 v5, s30
	v_add_co_u32_e32 v4, vcc, s31, v10
	s_lshl_b64 s[30:31], s[8:9], 2
	s_add_i32 s34, s34, s36
	s_mul_i32 s35, s22, s35
	s_add_u32 s35, s41, s35
	v_addc_co_u32_e32 v5, vcc, v11, v5, vcc
	s_addc_u32 s34, s40, s34
	v_mov_b32_e32 v7, s34
	v_add_co_u32_e32 v6, vcc, s35, v12
	s_lshl_b64 s[34:35], s[8:9], 1
	v_addc_co_u32_e32 v7, vcc, v13, v7, vcc
	s_mov_b64 s[36:37], 0
	v_mov_b32_e32 v14, s9
	v_mov_b32_e32 v15, s31
	;; [unrolled: 1-line block ×3, first 2 shown]
	v_pk_mov_b32 v[8:9], v[0:1], v[0:1] op_sel:[0,1]
.LBB13_5:                               ;   Parent Loop BB13_3 Depth=1
                                        ; =>  This Inner Loop Header: Depth=2
	global_load_dword v17, v1, s[24:25]
	v_add_co_u32_e32 v8, vcc, s8, v8
	v_addc_co_u32_e32 v9, vcc, v9, v14, vcc
	v_cmp_le_i64_e32 vcc, s[42:43], v[8:9]
	s_or_b64 s[36:37], vcc, s[36:37]
	s_waitcnt vmcnt(0)
	v_ashrrev_i32_e32 v20, 31, v17
	v_mul_lo_u32 v21, v17, s19
	v_mad_u64_u32 v[18:19], s[40:41], v17, s18, v[6:7]
	v_mul_lo_u32 v17, v20, s18
	v_add_u32_e32 v17, v21, v17
	v_add_u32_e32 v19, v17, v19
	global_load_ushort v17, v[18:19], off
	v_add_co_u32_e32 v6, vcc, s34, v6
	v_addc_co_u32_e32 v7, vcc, v7, v16, vcc
	s_waitcnt vmcnt(0)
	v_lshlrev_b32_e32 v17, 16, v17
	v_cvt_i32_f32_e32 v17, v17
	global_store_dword v[4:5], v17, off
	v_add_co_u32_e32 v4, vcc, s30, v4
	v_addc_co_u32_e32 v5, vcc, v5, v15, vcc
	s_andn2_b64 exec, exec, s[36:37]
	s_cbranch_execnz .LBB13_5
	s_branch .LBB13_2
.LBB13_6:
	s_endpgm
	.section	.rodata,"a",@progbits
	.p2align	6, 0x0
	.amdhsa_kernel _ZL16k_get_rows_floatI14__hip_bfloat16iEvPKT_PKiPT0_ll15HIP_vector_typeIjLj3EEmmmmmmmmm
		.amdhsa_group_segment_fixed_size 0
		.amdhsa_private_segment_fixed_size 0
		.amdhsa_kernarg_size 384
		.amdhsa_user_sgpr_count 6
		.amdhsa_user_sgpr_private_segment_buffer 1
		.amdhsa_user_sgpr_dispatch_ptr 0
		.amdhsa_user_sgpr_queue_ptr 0
		.amdhsa_user_sgpr_kernarg_segment_ptr 1
		.amdhsa_user_sgpr_dispatch_id 0
		.amdhsa_user_sgpr_flat_scratch_init 0
		.amdhsa_user_sgpr_kernarg_preload_length 0
		.amdhsa_user_sgpr_kernarg_preload_offset 0
		.amdhsa_user_sgpr_private_segment_size 0
		.amdhsa_uses_dynamic_stack 0
		.amdhsa_system_sgpr_private_segment_wavefront_offset 0
		.amdhsa_system_sgpr_workgroup_id_x 1
		.amdhsa_system_sgpr_workgroup_id_y 1
		.amdhsa_system_sgpr_workgroup_id_z 1
		.amdhsa_system_sgpr_workgroup_info 0
		.amdhsa_system_vgpr_workitem_id 0
		.amdhsa_next_free_vgpr 22
		.amdhsa_next_free_sgpr 44
		.amdhsa_accum_offset 24
		.amdhsa_reserve_vcc 1
		.amdhsa_reserve_flat_scratch 0
		.amdhsa_float_round_mode_32 0
		.amdhsa_float_round_mode_16_64 0
		.amdhsa_float_denorm_mode_32 3
		.amdhsa_float_denorm_mode_16_64 3
		.amdhsa_dx10_clamp 1
		.amdhsa_ieee_mode 1
		.amdhsa_fp16_overflow 0
		.amdhsa_tg_split 0
		.amdhsa_exception_fp_ieee_invalid_op 0
		.amdhsa_exception_fp_denorm_src 0
		.amdhsa_exception_fp_ieee_div_zero 0
		.amdhsa_exception_fp_ieee_overflow 0
		.amdhsa_exception_fp_ieee_underflow 0
		.amdhsa_exception_fp_ieee_inexact 0
		.amdhsa_exception_int_div_zero 0
	.end_amdhsa_kernel
	.section	.text._ZL16k_get_rows_floatI14__hip_bfloat16iEvPKT_PKiPT0_ll15HIP_vector_typeIjLj3EEmmmmmmmmm,"axG",@progbits,_ZL16k_get_rows_floatI14__hip_bfloat16iEvPKT_PKiPT0_ll15HIP_vector_typeIjLj3EEmmmmmmmmm,comdat
.Lfunc_end13:
	.size	_ZL16k_get_rows_floatI14__hip_bfloat16iEvPKT_PKiPT0_ll15HIP_vector_typeIjLj3EEmmmmmmmmm, .Lfunc_end13-_ZL16k_get_rows_floatI14__hip_bfloat16iEvPKT_PKiPT0_ll15HIP_vector_typeIjLj3EEmmmmmmmmm
                                        ; -- End function
	.section	.AMDGPU.csdata,"",@progbits
; Kernel info:
; codeLenInByte = 716
; NumSgprs: 48
; NumVgprs: 22
; NumAgprs: 0
; TotalNumVgprs: 22
; ScratchSize: 0
; MemoryBound: 0
; FloatMode: 240
; IeeeMode: 1
; LDSByteSize: 0 bytes/workgroup (compile time only)
; SGPRBlocks: 5
; VGPRBlocks: 2
; NumSGPRsForWavesPerEU: 48
; NumVGPRsForWavesPerEU: 22
; AccumOffset: 24
; Occupancy: 8
; WaveLimiterHint : 1
; COMPUTE_PGM_RSRC2:SCRATCH_EN: 0
; COMPUTE_PGM_RSRC2:USER_SGPR: 6
; COMPUTE_PGM_RSRC2:TRAP_HANDLER: 0
; COMPUTE_PGM_RSRC2:TGID_X_EN: 1
; COMPUTE_PGM_RSRC2:TGID_Y_EN: 1
; COMPUTE_PGM_RSRC2:TGID_Z_EN: 1
; COMPUTE_PGM_RSRC2:TIDIG_COMP_CNT: 0
; COMPUTE_PGM_RSRC3_GFX90A:ACCUM_OFFSET: 5
; COMPUTE_PGM_RSRC3_GFX90A:TG_SPLIT: 0
	.section	.text._ZL10k_get_rowsILi128ELi1EXadL_ZL15dequantize_q1_0PKvliR15HIP_vector_typeIfLj2EEEEiEvS1_PKiPT2_llS2_IjLj3EEmmmmmmmmm,"axG",@progbits,_ZL10k_get_rowsILi128ELi1EXadL_ZL15dequantize_q1_0PKvliR15HIP_vector_typeIfLj2EEEEiEvS1_PKiPT2_llS2_IjLj3EEmmmmmmmmm,comdat
	.globl	_ZL10k_get_rowsILi128ELi1EXadL_ZL15dequantize_q1_0PKvliR15HIP_vector_typeIfLj2EEEEiEvS1_PKiPT2_llS2_IjLj3EEmmmmmmmmm ; -- Begin function _ZL10k_get_rowsILi128ELi1EXadL_ZL15dequantize_q1_0PKvliR15HIP_vector_typeIfLj2EEEEiEvS1_PKiPT2_llS2_IjLj3EEmmmmmmmmm
	.p2align	8
	.type	_ZL10k_get_rowsILi128ELi1EXadL_ZL15dequantize_q1_0PKvliR15HIP_vector_typeIfLj2EEEEiEvS1_PKiPT2_llS2_IjLj3EEmmmmmmmmm,@function
_ZL10k_get_rowsILi128ELi1EXadL_ZL15dequantize_q1_0PKvliR15HIP_vector_typeIfLj2EEEEiEvS1_PKiPT2_llS2_IjLj3EEmmmmmmmmm: ; @_ZL10k_get_rowsILi128ELi1EXadL_ZL15dequantize_q1_0PKvliR15HIP_vector_typeIfLj2EEEEiEvS1_PKiPT2_llS2_IjLj3EEmmmmmmmmm
; %bb.0:
	s_load_dwordx4 s[28:31], s[4:5], 0x18
	s_load_dwordx2 s[2:3], s[4:5], 0x2c
	s_mov_b32 s9, 0
	v_pk_mov_b32 v[2:3], s[8:9], s[8:9] op_sel:[0,1]
	s_waitcnt lgkmcnt(0)
	s_mul_i32 s0, s3, s31
	s_mul_hi_u32 s1, s3, s30
	s_add_i32 s35, s1, s0
	s_mul_i32 s34, s3, s30
	v_cmp_le_i64_e32 vcc, s[34:35], v[2:3]
	s_cbranch_vccnz .LBB14_6
; %bb.1:
	s_load_dwordx4 s[36:39], s[4:5], 0x0
	s_load_dwordx2 s[42:43], s[4:5], 0x10
	s_load_dwordx2 s[10:11], s[4:5], 0x78
	;; [unrolled: 1-line block ×3, first 2 shown]
	s_load_dword s33, s[4:5], 0x28
	s_load_dwordx16 s[12:27], s[4:5], 0x38
	s_add_u32 s4, s4, 0x80
	s_addc_u32 s5, s5, 0
	s_waitcnt lgkmcnt(0)
	s_and_b32 s31, s31, 0xffff
	s_mul_i32 s7, s7, s31
	v_add_lshl_u32 v0, s7, v0, 1
	s_ashr_i32 s7, s6, 31
	s_mul_i32 s25, s6, s25
	s_mul_hi_u32 s40, s6, s24
	s_add_i32 s25, s40, s25
	s_mul_i32 s40, s7, s24
	s_add_i32 s25, s25, s40
	s_mul_i32 s24, s6, s24
	s_lshl_b64 s[24:25], s[24:25], 2
	s_add_u32 s40, s38, s24
	s_mul_i32 s13, s6, s13
	s_mul_hi_u32 s24, s6, s12
	s_addc_u32 s41, s39, s25
	s_add_i32 s13, s24, s13
	s_mul_i32 s7, s7, s12
	s_add_i32 s7, s13, s7
	s_mul_i32 s6, s6, s12
	s_lshl_b64 s[6:7], s[6:7], 2
	v_mov_b32_e32 v1, 0
	s_add_u32 s42, s42, s6
	v_cmp_gt_i64_e64 s[0:1], s[28:29], v[0:1]
	s_addc_u32 s43, s43, s7
	v_lshlrev_b64 v[2:3], 25, v[0:1]
	v_mov_b32_e32 v4, v1
	v_mov_b32_e32 v5, v0
	s_mov_b32 s44, 0x5040100
	v_pk_mov_b32 v[6:7], s[34:35], s[34:35] op_sel:[0,1]
	s_mov_b64 s[6:7], s[8:9]
	s_branch .LBB14_3
.LBB14_2:                               ;   in Loop: Header=BB14_3 Depth=1
	s_or_b64 exec, exec, s[12:13]
	s_add_u32 s6, s6, s30
	s_addc_u32 s7, s7, 0
	v_cmp_ge_i64_e32 vcc, s[6:7], v[6:7]
	s_cbranch_vccnz .LBB14_6
.LBB14_3:                               ; =>This Loop Header: Depth=1
                                        ;     Child Loop BB14_5 Depth 2
	s_and_saveexec_b64 s[12:13], s[0:1]
	s_cbranch_execz .LBB14_2
; %bb.4:                                ;   in Loop: Header=BB14_3 Depth=1
	s_mul_hi_u32 s8, s6, s33
	s_add_i32 s8, s8, s6
	s_lshr_b32 s8, s8, s2
	s_mul_i32 s24, s8, s3
	s_sub_i32 s38, s6, s24
	s_ashr_i32 s39, s8, 31
	s_mul_i32 s24, s8, s27
	s_mul_hi_u32 s25, s8, s26
	s_add_i32 s24, s25, s24
	s_mul_i32 s25, s39, s26
	s_ashr_i32 s46, s38, 31
	s_mul_i32 s34, s38, s11
	s_mul_hi_u32 s35, s38, s10
	s_add_i32 s25, s24, s25
	s_mul_i32 s24, s8, s26
	s_add_i32 s34, s35, s34
	s_mul_i32 s35, s46, s10
	s_add_i32 s35, s34, s35
	s_lshl_b64 s[24:25], s[24:25], 2
	s_mul_i32 s34, s38, s10
	s_add_u32 s45, s40, s24
	s_addc_u32 s47, s41, s25
	s_lshl_b64 s[24:25], s[34:35], 2
	s_add_u32 s24, s45, s24
	s_addc_u32 s25, s47, s25
	s_load_dword s34, s[24:25], 0x0
	s_mul_i32 s24, s8, s15
	s_mul_hi_u32 s25, s8, s14
	s_add_i32 s24, s25, s24
	s_mul_i32 s25, s39, s14
	s_add_i32 s25, s24, s25
	s_mul_i32 s24, s8, s14
	s_waitcnt lgkmcnt(0)
	s_ashr_i32 s35, s34, 31
	s_lshl_b64 s[24:25], s[24:25], 2
	s_add_u32 s45, s42, s24
	s_addc_u32 s47, s43, s25
	s_mul_i32 s24, s38, s17
	s_mul_hi_u32 s25, s38, s16
	s_add_i32 s24, s25, s24
	s_mul_i32 s25, s46, s16
	s_add_i32 s25, s24, s25
	s_mul_i32 s24, s38, s16
	s_lshl_b64 s[24:25], s[24:25], 2
	s_add_u32 s45, s45, s24
	s_addc_u32 s47, s47, s25
	s_mul_i32 s24, s34, s19
	s_mul_hi_u32 s25, s34, s18
	s_add_i32 s24, s25, s24
	s_mul_i32 s35, s35, s18
	s_add_i32 s24, s24, s35
	s_mul_i32 s34, s34, s18
	s_add_u32 s25, s36, s34
	s_mul_i32 s34, s8, s21
	s_mul_hi_u32 s35, s8, s20
	s_addc_u32 s24, s37, s24
	s_add_i32 s34, s35, s34
	s_mul_i32 s39, s39, s20
	s_add_i32 s34, s34, s39
	s_mul_i32 s8, s8, s20
	s_add_u32 s8, s25, s8
	s_addc_u32 s25, s24, s34
	s_mul_i32 s24, s38, s23
	s_mul_hi_u32 s34, s38, s22
	s_add_i32 s24, s34, s24
	s_load_dword s34, s[4:5], 0x4
	s_mul_i32 s46, s46, s22
	s_add_i32 s35, s24, s46
	s_mul_i32 s38, s38, s22
	s_add_u32 s24, s8, s38
	s_waitcnt lgkmcnt(0)
	s_mul_i32 s8, s34, s31
	s_addc_u32 s25, s25, s35
	s_lshl_b64 s[34:35], s[8:9], 25
	s_mov_b64 s[38:39], 0
	v_mov_b32_e32 v14, s47
	v_mov_b32_e32 v15, s9
	;; [unrolled: 1-line block ×4, first 2 shown]
	v_pk_mov_b32 v[8:9], v[4:5], v[4:5] op_sel:[0,1]
	v_pk_mov_b32 v[10:11], v[2:3], v[2:3] op_sel:[0,1]
	;; [unrolled: 1-line block ×3, first 2 shown]
.LBB14_5:                               ;   Parent Loop BB14_3 Depth=1
                                        ; =>  This Inner Loop Header: Depth=2
	v_and_b32_e32 v20, 0x7f, v12
	v_mad_i64_i32 v[18:19], s[46:47], v11, 18, s[24:25]
	v_bfe_u32 v21, v12, 3, 4
	v_add_u32_e32 v22, 1, v20
	v_add_co_u32_e32 v20, vcc, v18, v21
	v_addc_co_u32_e32 v21, vcc, 0, v19, vcc
	v_lshrrev_b32_e32 v24, 3, v22
	global_load_ushort v23, v[18:19], off
	s_nop 0
	global_load_ubyte v21, v[20:21], off offset:2
	v_add_co_u32_e32 v18, vcc, v18, v24
	v_addc_co_u32_e32 v19, vcc, 0, v19, vcc
	global_load_ubyte v24, v[18:19], off offset:2
	v_perm_b32 v20, v22, v12, s44
	v_and_b32_e32 v22, 0x70007, v20
	v_add_co_u32_e32 v10, vcc, s34, v10
	v_addc_co_u32_e32 v11, vcc, v11, v16, vcc
	v_ashrrev_i64 v[18:19], 30, v[8:9]
	v_add_co_u32_e32 v8, vcc, 0, v8
	v_addc_co_u32_e32 v9, vcc, v9, v17, vcc
	v_add_co_u32_e32 v18, vcc, s45, v18
	v_addc_co_u32_e32 v19, vcc, v14, v19, vcc
	;; [unrolled: 2-line block ×3, first 2 shown]
	v_cmp_le_i64_e32 vcc, s[28:29], v[12:13]
	s_or_b64 s[38:39], vcc, s[38:39]
	s_waitcnt vmcnt(2)
	v_cvt_f32_f16_e32 v20, v23
	s_waitcnt vmcnt(0)
	v_perm_b32 v21, v24, v21, s44
	v_pk_lshrrev_b16 v21, v22, v21
	v_pk_lshlrev_b16 v21, 1, v21 op_sel_hi:[0,1]
	v_and_b32_e32 v21, 0x20002, v21
	v_pk_add_u16 v21, v21, -1
	v_cvt_f32_i32_sdwa v23, sext(v21) dst_sel:DWORD dst_unused:UNUSED_PAD src0_sel:WORD_1
	v_cvt_f32_i32_sdwa v22, sext(v21) dst_sel:DWORD dst_unused:UNUSED_PAD src0_sel:WORD_0
	v_pk_mul_f32 v[20:21], v[20:21], v[22:23] op_sel_hi:[0,1]
	v_cvt_i32_f32_e32 v21, v21
	v_cvt_i32_f32_e32 v20, v20
	global_store_dwordx2 v[18:19], v[20:21], off
	s_andn2_b64 exec, exec, s[38:39]
	s_cbranch_execnz .LBB14_5
	s_branch .LBB14_2
.LBB14_6:
	s_endpgm
	.section	.rodata,"a",@progbits
	.p2align	6, 0x0
	.amdhsa_kernel _ZL10k_get_rowsILi128ELi1EXadL_ZL15dequantize_q1_0PKvliR15HIP_vector_typeIfLj2EEEEiEvS1_PKiPT2_llS2_IjLj3EEmmmmmmmmm
		.amdhsa_group_segment_fixed_size 0
		.amdhsa_private_segment_fixed_size 0
		.amdhsa_kernarg_size 384
		.amdhsa_user_sgpr_count 6
		.amdhsa_user_sgpr_private_segment_buffer 1
		.amdhsa_user_sgpr_dispatch_ptr 0
		.amdhsa_user_sgpr_queue_ptr 0
		.amdhsa_user_sgpr_kernarg_segment_ptr 1
		.amdhsa_user_sgpr_dispatch_id 0
		.amdhsa_user_sgpr_flat_scratch_init 0
		.amdhsa_user_sgpr_kernarg_preload_length 0
		.amdhsa_user_sgpr_kernarg_preload_offset 0
		.amdhsa_user_sgpr_private_segment_size 0
		.amdhsa_uses_dynamic_stack 0
		.amdhsa_system_sgpr_private_segment_wavefront_offset 0
		.amdhsa_system_sgpr_workgroup_id_x 1
		.amdhsa_system_sgpr_workgroup_id_y 1
		.amdhsa_system_sgpr_workgroup_id_z 1
		.amdhsa_system_sgpr_workgroup_info 0
		.amdhsa_system_vgpr_workitem_id 0
		.amdhsa_next_free_vgpr 25
		.amdhsa_next_free_sgpr 48
		.amdhsa_accum_offset 28
		.amdhsa_reserve_vcc 1
		.amdhsa_reserve_flat_scratch 0
		.amdhsa_float_round_mode_32 0
		.amdhsa_float_round_mode_16_64 0
		.amdhsa_float_denorm_mode_32 3
		.amdhsa_float_denorm_mode_16_64 3
		.amdhsa_dx10_clamp 1
		.amdhsa_ieee_mode 1
		.amdhsa_fp16_overflow 0
		.amdhsa_tg_split 0
		.amdhsa_exception_fp_ieee_invalid_op 0
		.amdhsa_exception_fp_denorm_src 0
		.amdhsa_exception_fp_ieee_div_zero 0
		.amdhsa_exception_fp_ieee_overflow 0
		.amdhsa_exception_fp_ieee_underflow 0
		.amdhsa_exception_fp_ieee_inexact 0
		.amdhsa_exception_int_div_zero 0
	.end_amdhsa_kernel
	.section	.text._ZL10k_get_rowsILi128ELi1EXadL_ZL15dequantize_q1_0PKvliR15HIP_vector_typeIfLj2EEEEiEvS1_PKiPT2_llS2_IjLj3EEmmmmmmmmm,"axG",@progbits,_ZL10k_get_rowsILi128ELi1EXadL_ZL15dequantize_q1_0PKvliR15HIP_vector_typeIfLj2EEEEiEvS1_PKiPT2_llS2_IjLj3EEmmmmmmmmm,comdat
.Lfunc_end14:
	.size	_ZL10k_get_rowsILi128ELi1EXadL_ZL15dequantize_q1_0PKvliR15HIP_vector_typeIfLj2EEEEiEvS1_PKiPT2_llS2_IjLj3EEmmmmmmmmm, .Lfunc_end14-_ZL10k_get_rowsILi128ELi1EXadL_ZL15dequantize_q1_0PKvliR15HIP_vector_typeIfLj2EEEEiEvS1_PKiPT2_llS2_IjLj3EEmmmmmmmmm
                                        ; -- End function
	.section	.AMDGPU.csdata,"",@progbits
; Kernel info:
; codeLenInByte = 892
; NumSgprs: 52
; NumVgprs: 25
; NumAgprs: 0
; TotalNumVgprs: 25
; ScratchSize: 0
; MemoryBound: 0
; FloatMode: 240
; IeeeMode: 1
; LDSByteSize: 0 bytes/workgroup (compile time only)
; SGPRBlocks: 6
; VGPRBlocks: 3
; NumSGPRsForWavesPerEU: 52
; NumVGPRsForWavesPerEU: 25
; AccumOffset: 28
; Occupancy: 8
; WaveLimiterHint : 1
; COMPUTE_PGM_RSRC2:SCRATCH_EN: 0
; COMPUTE_PGM_RSRC2:USER_SGPR: 6
; COMPUTE_PGM_RSRC2:TRAP_HANDLER: 0
; COMPUTE_PGM_RSRC2:TGID_X_EN: 1
; COMPUTE_PGM_RSRC2:TGID_Y_EN: 1
; COMPUTE_PGM_RSRC2:TGID_Z_EN: 1
; COMPUTE_PGM_RSRC2:TIDIG_COMP_CNT: 0
; COMPUTE_PGM_RSRC3_GFX90A:ACCUM_OFFSET: 6
; COMPUTE_PGM_RSRC3_GFX90A:TG_SPLIT: 0
	.section	.text._ZL10k_get_rowsILi32ELi2EXadL_ZL15dequantize_q4_0PKvliR15HIP_vector_typeIfLj2EEEEiEvS1_PKiPT2_llS2_IjLj3EEmmmmmmmmm,"axG",@progbits,_ZL10k_get_rowsILi32ELi2EXadL_ZL15dequantize_q4_0PKvliR15HIP_vector_typeIfLj2EEEEiEvS1_PKiPT2_llS2_IjLj3EEmmmmmmmmm,comdat
	.globl	_ZL10k_get_rowsILi32ELi2EXadL_ZL15dequantize_q4_0PKvliR15HIP_vector_typeIfLj2EEEEiEvS1_PKiPT2_llS2_IjLj3EEmmmmmmmmm ; -- Begin function _ZL10k_get_rowsILi32ELi2EXadL_ZL15dequantize_q4_0PKvliR15HIP_vector_typeIfLj2EEEEiEvS1_PKiPT2_llS2_IjLj3EEmmmmmmmmm
	.p2align	8
	.type	_ZL10k_get_rowsILi32ELi2EXadL_ZL15dequantize_q4_0PKvliR15HIP_vector_typeIfLj2EEEEiEvS1_PKiPT2_llS2_IjLj3EEmmmmmmmmm,@function
_ZL10k_get_rowsILi32ELi2EXadL_ZL15dequantize_q4_0PKvliR15HIP_vector_typeIfLj2EEEEiEvS1_PKiPT2_llS2_IjLj3EEmmmmmmmmm: ; @_ZL10k_get_rowsILi32ELi2EXadL_ZL15dequantize_q4_0PKvliR15HIP_vector_typeIfLj2EEEEiEvS1_PKiPT2_llS2_IjLj3EEmmmmmmmmm
; %bb.0:
	s_load_dwordx4 s[28:31], s[4:5], 0x18
	s_load_dwordx2 s[2:3], s[4:5], 0x2c
	s_mov_b32 s9, 0
	v_pk_mov_b32 v[2:3], s[8:9], s[8:9] op_sel:[0,1]
	s_waitcnt lgkmcnt(0)
	s_mul_i32 s0, s3, s31
	s_mul_hi_u32 s1, s3, s30
	s_add_i32 s35, s1, s0
	s_mul_i32 s34, s3, s30
	v_cmp_le_i64_e32 vcc, s[34:35], v[2:3]
	s_cbranch_vccnz .LBB15_6
; %bb.1:
	s_load_dwordx4 s[36:39], s[4:5], 0x0
	s_load_dwordx2 s[42:43], s[4:5], 0x10
	s_load_dwordx2 s[10:11], s[4:5], 0x78
	;; [unrolled: 1-line block ×3, first 2 shown]
	s_load_dword s33, s[4:5], 0x28
	s_load_dwordx16 s[12:27], s[4:5], 0x38
	s_add_u32 s4, s4, 0x80
	s_addc_u32 s5, s5, 0
	s_waitcnt lgkmcnt(0)
	s_and_b32 s31, s31, 0xffff
	s_mul_i32 s7, s7, s31
	v_add_lshl_u32 v0, s7, v0, 1
	s_ashr_i32 s7, s6, 31
	s_mul_i32 s25, s6, s25
	s_mul_hi_u32 s40, s6, s24
	s_add_i32 s25, s40, s25
	s_mul_i32 s40, s7, s24
	s_add_i32 s25, s25, s40
	s_mul_i32 s24, s6, s24
	s_lshl_b64 s[24:25], s[24:25], 2
	s_add_u32 s40, s38, s24
	s_mul_i32 s13, s6, s13
	s_mul_hi_u32 s24, s6, s12
	s_addc_u32 s41, s39, s25
	s_add_i32 s13, s24, s13
	s_mul_i32 s7, s7, s12
	s_add_i32 s7, s13, s7
	s_mul_i32 s6, s6, s12
	s_lshl_b64 s[6:7], s[6:7], 2
	v_mov_b32_e32 v1, 0
	s_add_u32 s42, s42, s6
	v_cmp_gt_i64_e64 s[0:1], s[28:29], v[0:1]
	s_addc_u32 s43, s43, s7
	v_lshlrev_b64 v[2:3], 27, v[0:1]
	s_movk_i32 s44, 0xffe0
	v_pk_mov_b32 v[4:5], s[34:35], s[34:35] op_sel:[0,1]
	s_mov_b64 s[6:7], s[8:9]
	s_branch .LBB15_3
.LBB15_2:                               ;   in Loop: Header=BB15_3 Depth=1
	s_or_b64 exec, exec, s[12:13]
	s_add_u32 s6, s6, s30
	s_addc_u32 s7, s7, 0
	v_cmp_ge_i64_e32 vcc, s[6:7], v[4:5]
	s_cbranch_vccnz .LBB15_6
.LBB15_3:                               ; =>This Loop Header: Depth=1
                                        ;     Child Loop BB15_5 Depth 2
	s_and_saveexec_b64 s[12:13], s[0:1]
	s_cbranch_execz .LBB15_2
; %bb.4:                                ;   in Loop: Header=BB15_3 Depth=1
	s_mul_hi_u32 s8, s6, s33
	s_add_i32 s8, s8, s6
	s_lshr_b32 s8, s8, s2
	s_mul_i32 s24, s8, s3
	s_sub_i32 s38, s6, s24
	s_ashr_i32 s39, s8, 31
	s_mul_i32 s24, s8, s27
	s_mul_hi_u32 s25, s8, s26
	s_add_i32 s24, s25, s24
	s_mul_i32 s25, s39, s26
	s_ashr_i32 s46, s38, 31
	s_mul_i32 s34, s38, s11
	s_mul_hi_u32 s35, s38, s10
	s_add_i32 s25, s24, s25
	s_mul_i32 s24, s8, s26
	s_add_i32 s34, s35, s34
	s_mul_i32 s35, s46, s10
	s_add_i32 s35, s34, s35
	s_lshl_b64 s[24:25], s[24:25], 2
	s_mul_i32 s34, s38, s10
	s_add_u32 s45, s40, s24
	s_addc_u32 s47, s41, s25
	s_lshl_b64 s[24:25], s[34:35], 2
	s_add_u32 s24, s45, s24
	s_addc_u32 s25, s47, s25
	s_load_dword s34, s[24:25], 0x0
	s_mul_i32 s24, s8, s15
	s_mul_hi_u32 s25, s8, s14
	s_add_i32 s24, s25, s24
	s_mul_i32 s25, s39, s14
	s_add_i32 s25, s24, s25
	s_mul_i32 s24, s8, s14
	s_waitcnt lgkmcnt(0)
	s_ashr_i32 s35, s34, 31
	s_lshl_b64 s[24:25], s[24:25], 2
	s_add_u32 s45, s42, s24
	s_addc_u32 s47, s43, s25
	s_mul_i32 s24, s38, s17
	s_mul_hi_u32 s25, s38, s16
	s_add_i32 s24, s25, s24
	s_mul_i32 s25, s46, s16
	s_add_i32 s25, s24, s25
	s_mul_i32 s24, s38, s16
	s_lshl_b64 s[24:25], s[24:25], 2
	s_add_u32 s45, s45, s24
	s_addc_u32 s47, s47, s25
	s_mul_i32 s24, s34, s19
	s_mul_hi_u32 s25, s34, s18
	s_add_i32 s24, s25, s24
	s_mul_i32 s35, s35, s18
	s_add_i32 s24, s24, s35
	s_mul_i32 s34, s34, s18
	s_add_u32 s25, s36, s34
	s_mul_i32 s34, s8, s21
	s_mul_hi_u32 s35, s8, s20
	s_addc_u32 s24, s37, s24
	s_add_i32 s34, s35, s34
	s_mul_i32 s39, s39, s20
	s_add_i32 s34, s34, s39
	s_mul_i32 s8, s8, s20
	s_add_u32 s8, s25, s8
	s_addc_u32 s25, s24, s34
	s_mul_i32 s24, s38, s23
	s_mul_hi_u32 s34, s38, s22
	s_add_i32 s24, s34, s24
	s_load_dword s34, s[4:5], 0x4
	s_mul_i32 s46, s46, s22
	s_add_i32 s35, s24, s46
	s_mul_i32 s38, s38, s22
	s_add_u32 s24, s8, s38
	s_waitcnt lgkmcnt(0)
	s_mul_i32 s8, s34, s31
	s_addc_u32 s25, s25, s35
	s_lshl_b64 s[34:35], s[8:9], 27
	s_mov_b64 s[38:39], 0
	v_mov_b32_e32 v10, s47
	v_mov_b32_e32 v11, s9
	;; [unrolled: 1-line block ×3, first 2 shown]
	v_pk_mov_b32 v[6:7], v[2:3], v[2:3] op_sel:[0,1]
	v_pk_mov_b32 v[8:9], v[0:1], v[0:1] op_sel:[0,1]
.LBB15_5:                               ;   Parent Loop BB15_3 Depth=1
                                        ; =>  This Inner Loop Header: Depth=2
	v_bfe_u32 v13, v8, 1, 4
	v_mad_i64_i32 v[14:15], s[46:47], v7, 18, s[24:25]
	v_add_co_u32_e32 v16, vcc, v14, v13
	v_addc_co_u32_e32 v17, vcc, 0, v15, vcc
	global_load_ushort v18, v[14:15], off
	global_load_ubyte v19, v[16:17], off offset:2
	v_and_or_b32 v14, v8, s44, v13
	v_add_co_u32_e32 v6, vcc, s34, v6
	v_addc_co_u32_e32 v7, vcc, v7, v12, vcc
	v_add_co_u32_e32 v8, vcc, s8, v8
	v_addc_co_u32_e32 v9, vcc, v9, v11, vcc
	v_ashrrev_i32_e32 v15, 31, v14
	v_cmp_le_i64_e32 vcc, s[28:29], v[8:9]
	v_lshlrev_b64 v[14:15], 2, v[14:15]
	s_or_b64 s[38:39], vcc, s[38:39]
	v_add_co_u32_e32 v14, vcc, s45, v14
	v_addc_co_u32_e32 v15, vcc, v10, v15, vcc
	s_waitcnt vmcnt(1)
	v_cvt_f32_f16_e32 v13, v18
	s_waitcnt vmcnt(0)
	v_and_b32_e32 v16, 15, v19
	v_lshrrev_b32_e32 v17, 4, v19
	v_add_u32_e32 v16, -8, v16
	v_add_u32_e32 v17, -8, v17
	v_cvt_f32_i32_e32 v16, v16
	v_cvt_f32_i32_e32 v17, v17
	v_mul_f32_e32 v16, v13, v16
	v_mul_f32_e32 v13, v13, v17
	v_cvt_i32_f32_e32 v16, v16
	v_cvt_i32_f32_e32 v13, v13
	global_store_dword v[14:15], v16, off
	global_store_dword v[14:15], v13, off offset:64
	s_andn2_b64 exec, exec, s[38:39]
	s_cbranch_execnz .LBB15_5
	s_branch .LBB15_2
.LBB15_6:
	s_endpgm
	.section	.rodata,"a",@progbits
	.p2align	6, 0x0
	.amdhsa_kernel _ZL10k_get_rowsILi32ELi2EXadL_ZL15dequantize_q4_0PKvliR15HIP_vector_typeIfLj2EEEEiEvS1_PKiPT2_llS2_IjLj3EEmmmmmmmmm
		.amdhsa_group_segment_fixed_size 0
		.amdhsa_private_segment_fixed_size 0
		.amdhsa_kernarg_size 384
		.amdhsa_user_sgpr_count 6
		.amdhsa_user_sgpr_private_segment_buffer 1
		.amdhsa_user_sgpr_dispatch_ptr 0
		.amdhsa_user_sgpr_queue_ptr 0
		.amdhsa_user_sgpr_kernarg_segment_ptr 1
		.amdhsa_user_sgpr_dispatch_id 0
		.amdhsa_user_sgpr_flat_scratch_init 0
		.amdhsa_user_sgpr_kernarg_preload_length 0
		.amdhsa_user_sgpr_kernarg_preload_offset 0
		.amdhsa_user_sgpr_private_segment_size 0
		.amdhsa_uses_dynamic_stack 0
		.amdhsa_system_sgpr_private_segment_wavefront_offset 0
		.amdhsa_system_sgpr_workgroup_id_x 1
		.amdhsa_system_sgpr_workgroup_id_y 1
		.amdhsa_system_sgpr_workgroup_id_z 1
		.amdhsa_system_sgpr_workgroup_info 0
		.amdhsa_system_vgpr_workitem_id 0
		.amdhsa_next_free_vgpr 20
		.amdhsa_next_free_sgpr 48
		.amdhsa_accum_offset 20
		.amdhsa_reserve_vcc 1
		.amdhsa_reserve_flat_scratch 0
		.amdhsa_float_round_mode_32 0
		.amdhsa_float_round_mode_16_64 0
		.amdhsa_float_denorm_mode_32 3
		.amdhsa_float_denorm_mode_16_64 3
		.amdhsa_dx10_clamp 1
		.amdhsa_ieee_mode 1
		.amdhsa_fp16_overflow 0
		.amdhsa_tg_split 0
		.amdhsa_exception_fp_ieee_invalid_op 0
		.amdhsa_exception_fp_denorm_src 0
		.amdhsa_exception_fp_ieee_div_zero 0
		.amdhsa_exception_fp_ieee_overflow 0
		.amdhsa_exception_fp_ieee_underflow 0
		.amdhsa_exception_fp_ieee_inexact 0
		.amdhsa_exception_int_div_zero 0
	.end_amdhsa_kernel
	.section	.text._ZL10k_get_rowsILi32ELi2EXadL_ZL15dequantize_q4_0PKvliR15HIP_vector_typeIfLj2EEEEiEvS1_PKiPT2_llS2_IjLj3EEmmmmmmmmm,"axG",@progbits,_ZL10k_get_rowsILi32ELi2EXadL_ZL15dequantize_q4_0PKvliR15HIP_vector_typeIfLj2EEEEiEvS1_PKiPT2_llS2_IjLj3EEmmmmmmmmm,comdat
.Lfunc_end15:
	.size	_ZL10k_get_rowsILi32ELi2EXadL_ZL15dequantize_q4_0PKvliR15HIP_vector_typeIfLj2EEEEiEvS1_PKiPT2_llS2_IjLj3EEmmmmmmmmm, .Lfunc_end15-_ZL10k_get_rowsILi32ELi2EXadL_ZL15dequantize_q4_0PKvliR15HIP_vector_typeIfLj2EEEEiEvS1_PKiPT2_llS2_IjLj3EEmmmmmmmmm
                                        ; -- End function
	.section	.AMDGPU.csdata,"",@progbits
; Kernel info:
; codeLenInByte = 796
; NumSgprs: 52
; NumVgprs: 20
; NumAgprs: 0
; TotalNumVgprs: 20
; ScratchSize: 0
; MemoryBound: 0
; FloatMode: 240
; IeeeMode: 1
; LDSByteSize: 0 bytes/workgroup (compile time only)
; SGPRBlocks: 6
; VGPRBlocks: 2
; NumSGPRsForWavesPerEU: 52
; NumVGPRsForWavesPerEU: 20
; AccumOffset: 20
; Occupancy: 8
; WaveLimiterHint : 1
; COMPUTE_PGM_RSRC2:SCRATCH_EN: 0
; COMPUTE_PGM_RSRC2:USER_SGPR: 6
; COMPUTE_PGM_RSRC2:TRAP_HANDLER: 0
; COMPUTE_PGM_RSRC2:TGID_X_EN: 1
; COMPUTE_PGM_RSRC2:TGID_Y_EN: 1
; COMPUTE_PGM_RSRC2:TGID_Z_EN: 1
; COMPUTE_PGM_RSRC2:TIDIG_COMP_CNT: 0
; COMPUTE_PGM_RSRC3_GFX90A:ACCUM_OFFSET: 4
; COMPUTE_PGM_RSRC3_GFX90A:TG_SPLIT: 0
	.section	.text._ZL10k_get_rowsILi32ELi2EXadL_ZL15dequantize_q4_1PKvliR15HIP_vector_typeIfLj2EEEEiEvS1_PKiPT2_llS2_IjLj3EEmmmmmmmmm,"axG",@progbits,_ZL10k_get_rowsILi32ELi2EXadL_ZL15dequantize_q4_1PKvliR15HIP_vector_typeIfLj2EEEEiEvS1_PKiPT2_llS2_IjLj3EEmmmmmmmmm,comdat
	.globl	_ZL10k_get_rowsILi32ELi2EXadL_ZL15dequantize_q4_1PKvliR15HIP_vector_typeIfLj2EEEEiEvS1_PKiPT2_llS2_IjLj3EEmmmmmmmmm ; -- Begin function _ZL10k_get_rowsILi32ELi2EXadL_ZL15dequantize_q4_1PKvliR15HIP_vector_typeIfLj2EEEEiEvS1_PKiPT2_llS2_IjLj3EEmmmmmmmmm
	.p2align	8
	.type	_ZL10k_get_rowsILi32ELi2EXadL_ZL15dequantize_q4_1PKvliR15HIP_vector_typeIfLj2EEEEiEvS1_PKiPT2_llS2_IjLj3EEmmmmmmmmm,@function
_ZL10k_get_rowsILi32ELi2EXadL_ZL15dequantize_q4_1PKvliR15HIP_vector_typeIfLj2EEEEiEvS1_PKiPT2_llS2_IjLj3EEmmmmmmmmm: ; @_ZL10k_get_rowsILi32ELi2EXadL_ZL15dequantize_q4_1PKvliR15HIP_vector_typeIfLj2EEEEiEvS1_PKiPT2_llS2_IjLj3EEmmmmmmmmm
; %bb.0:
	s_load_dwordx4 s[28:31], s[4:5], 0x18
	s_load_dwordx2 s[2:3], s[4:5], 0x2c
	s_mov_b32 s9, 0
	v_pk_mov_b32 v[2:3], s[8:9], s[8:9] op_sel:[0,1]
	s_waitcnt lgkmcnt(0)
	s_mul_i32 s0, s3, s31
	s_mul_hi_u32 s1, s3, s30
	s_add_i32 s35, s1, s0
	s_mul_i32 s34, s3, s30
	v_cmp_le_i64_e32 vcc, s[34:35], v[2:3]
	s_cbranch_vccnz .LBB16_6
; %bb.1:
	s_load_dwordx4 s[36:39], s[4:5], 0x0
	s_load_dwordx2 s[42:43], s[4:5], 0x10
	s_load_dwordx2 s[10:11], s[4:5], 0x78
	s_load_dwordx2 s[30:31], s[4:5], 0x88
	s_load_dword s33, s[4:5], 0x28
	s_load_dwordx16 s[12:27], s[4:5], 0x38
	s_add_u32 s4, s4, 0x80
	s_addc_u32 s5, s5, 0
	s_waitcnt lgkmcnt(0)
	s_and_b32 s31, s31, 0xffff
	s_mul_i32 s7, s7, s31
	v_add_lshl_u32 v0, s7, v0, 1
	s_ashr_i32 s7, s6, 31
	s_mul_i32 s25, s6, s25
	s_mul_hi_u32 s40, s6, s24
	s_add_i32 s25, s40, s25
	s_mul_i32 s40, s7, s24
	s_add_i32 s25, s25, s40
	s_mul_i32 s24, s6, s24
	s_lshl_b64 s[24:25], s[24:25], 2
	s_add_u32 s40, s38, s24
	s_mul_i32 s13, s6, s13
	s_mul_hi_u32 s24, s6, s12
	s_addc_u32 s41, s39, s25
	s_add_i32 s13, s24, s13
	s_mul_i32 s7, s7, s12
	s_add_i32 s7, s13, s7
	s_mul_i32 s6, s6, s12
	s_lshl_b64 s[6:7], s[6:7], 2
	v_mov_b32_e32 v1, 0
	s_add_u32 s42, s42, s6
	v_cmp_gt_i64_e64 s[0:1], s[28:29], v[0:1]
	s_addc_u32 s43, s43, s7
	v_lshlrev_b64 v[2:3], 27, v[0:1]
	s_movk_i32 s44, 0xffe0
	v_pk_mov_b32 v[4:5], s[34:35], s[34:35] op_sel:[0,1]
	s_mov_b64 s[6:7], s[8:9]
	s_branch .LBB16_3
.LBB16_2:                               ;   in Loop: Header=BB16_3 Depth=1
	s_or_b64 exec, exec, s[12:13]
	s_add_u32 s6, s6, s30
	s_addc_u32 s7, s7, 0
	v_cmp_ge_i64_e32 vcc, s[6:7], v[4:5]
	s_cbranch_vccnz .LBB16_6
.LBB16_3:                               ; =>This Loop Header: Depth=1
                                        ;     Child Loop BB16_5 Depth 2
	s_and_saveexec_b64 s[12:13], s[0:1]
	s_cbranch_execz .LBB16_2
; %bb.4:                                ;   in Loop: Header=BB16_3 Depth=1
	s_mul_hi_u32 s8, s6, s33
	s_add_i32 s8, s8, s6
	s_lshr_b32 s8, s8, s2
	s_mul_i32 s24, s8, s3
	s_sub_i32 s38, s6, s24
	s_ashr_i32 s39, s8, 31
	s_mul_i32 s24, s8, s27
	s_mul_hi_u32 s25, s8, s26
	s_add_i32 s24, s25, s24
	s_mul_i32 s25, s39, s26
	s_ashr_i32 s46, s38, 31
	s_mul_i32 s34, s38, s11
	s_mul_hi_u32 s35, s38, s10
	s_add_i32 s25, s24, s25
	s_mul_i32 s24, s8, s26
	s_add_i32 s34, s35, s34
	s_mul_i32 s35, s46, s10
	s_add_i32 s35, s34, s35
	s_lshl_b64 s[24:25], s[24:25], 2
	s_mul_i32 s34, s38, s10
	s_add_u32 s45, s40, s24
	s_addc_u32 s47, s41, s25
	s_lshl_b64 s[24:25], s[34:35], 2
	s_add_u32 s24, s45, s24
	s_addc_u32 s25, s47, s25
	s_load_dword s34, s[24:25], 0x0
	s_mul_i32 s24, s8, s15
	s_mul_hi_u32 s25, s8, s14
	s_add_i32 s24, s25, s24
	s_mul_i32 s25, s39, s14
	s_add_i32 s25, s24, s25
	s_mul_i32 s24, s8, s14
	s_waitcnt lgkmcnt(0)
	s_ashr_i32 s35, s34, 31
	s_lshl_b64 s[24:25], s[24:25], 2
	s_add_u32 s45, s42, s24
	s_addc_u32 s47, s43, s25
	s_mul_i32 s24, s38, s17
	s_mul_hi_u32 s25, s38, s16
	s_add_i32 s24, s25, s24
	s_mul_i32 s25, s46, s16
	s_add_i32 s25, s24, s25
	s_mul_i32 s24, s38, s16
	s_lshl_b64 s[24:25], s[24:25], 2
	s_add_u32 s45, s45, s24
	s_addc_u32 s47, s47, s25
	s_mul_i32 s24, s34, s19
	s_mul_hi_u32 s25, s34, s18
	s_add_i32 s24, s25, s24
	s_mul_i32 s35, s35, s18
	s_add_i32 s24, s24, s35
	s_mul_i32 s34, s34, s18
	s_add_u32 s25, s36, s34
	s_mul_i32 s34, s8, s21
	s_mul_hi_u32 s35, s8, s20
	s_addc_u32 s24, s37, s24
	s_add_i32 s34, s35, s34
	s_mul_i32 s39, s39, s20
	s_add_i32 s34, s34, s39
	s_mul_i32 s8, s8, s20
	s_add_u32 s8, s25, s8
	s_addc_u32 s25, s24, s34
	s_mul_i32 s24, s38, s23
	s_mul_hi_u32 s34, s38, s22
	s_add_i32 s24, s34, s24
	s_load_dword s34, s[4:5], 0x4
	s_mul_i32 s46, s46, s22
	s_add_i32 s35, s24, s46
	s_mul_i32 s38, s38, s22
	s_add_u32 s24, s8, s38
	s_waitcnt lgkmcnt(0)
	s_mul_i32 s8, s34, s31
	s_addc_u32 s25, s25, s35
	s_lshl_b64 s[34:35], s[8:9], 27
	s_mov_b64 s[38:39], 0
	v_mov_b32_e32 v10, s47
	v_mov_b32_e32 v11, s9
	;; [unrolled: 1-line block ×3, first 2 shown]
	v_pk_mov_b32 v[6:7], v[2:3], v[2:3] op_sel:[0,1]
	v_pk_mov_b32 v[8:9], v[0:1], v[0:1] op_sel:[0,1]
.LBB16_5:                               ;   Parent Loop BB16_3 Depth=1
                                        ; =>  This Inner Loop Header: Depth=2
	v_bfe_u32 v13, v8, 1, 4
	v_mad_i64_i32 v[14:15], s[46:47], v7, 20, s[24:25]
	v_add_co_u32_e32 v16, vcc, v14, v13
	v_addc_co_u32_e32 v17, vcc, 0, v15, vcc
	global_load_dword v18, v[14:15], off
	global_load_ubyte v19, v[16:17], off offset:4
	v_add_co_u32_e32 v6, vcc, s34, v6
	v_and_or_b32 v14, v8, s44, v13
	v_addc_co_u32_e32 v7, vcc, v7, v12, vcc
	v_add_co_u32_e32 v8, vcc, s8, v8
	v_addc_co_u32_e32 v9, vcc, v9, v11, vcc
	v_ashrrev_i32_e32 v15, 31, v14
	v_cmp_le_i64_e32 vcc, s[28:29], v[8:9]
	v_lshlrev_b64 v[14:15], 2, v[14:15]
	s_or_b64 s[38:39], vcc, s[38:39]
	v_add_co_u32_e32 v14, vcc, s45, v14
	v_addc_co_u32_e32 v15, vcc, v10, v15, vcc
	s_waitcnt vmcnt(0)
	v_and_b32_e32 v13, 15, v19
	v_lshrrev_b32_e32 v16, 4, v19
	v_cvt_f32_ubyte0_e32 v13, v13
	v_cvt_f32_ubyte0_e32 v16, v16
	v_fma_mix_f32 v13, v18, v13, v18 op_sel:[0,0,1] op_sel_hi:[1,0,1]
	v_fma_mix_f32 v16, v18, v16, v18 op_sel:[0,0,1] op_sel_hi:[1,0,1]
	v_cvt_i32_f32_e32 v13, v13
	v_cvt_i32_f32_e32 v16, v16
	global_store_dword v[14:15], v13, off
	global_store_dword v[14:15], v16, off offset:64
	s_andn2_b64 exec, exec, s[38:39]
	s_cbranch_execnz .LBB16_5
	s_branch .LBB16_2
.LBB16_6:
	s_endpgm
	.section	.rodata,"a",@progbits
	.p2align	6, 0x0
	.amdhsa_kernel _ZL10k_get_rowsILi32ELi2EXadL_ZL15dequantize_q4_1PKvliR15HIP_vector_typeIfLj2EEEEiEvS1_PKiPT2_llS2_IjLj3EEmmmmmmmmm
		.amdhsa_group_segment_fixed_size 0
		.amdhsa_private_segment_fixed_size 0
		.amdhsa_kernarg_size 384
		.amdhsa_user_sgpr_count 6
		.amdhsa_user_sgpr_private_segment_buffer 1
		.amdhsa_user_sgpr_dispatch_ptr 0
		.amdhsa_user_sgpr_queue_ptr 0
		.amdhsa_user_sgpr_kernarg_segment_ptr 1
		.amdhsa_user_sgpr_dispatch_id 0
		.amdhsa_user_sgpr_flat_scratch_init 0
		.amdhsa_user_sgpr_kernarg_preload_length 0
		.amdhsa_user_sgpr_kernarg_preload_offset 0
		.amdhsa_user_sgpr_private_segment_size 0
		.amdhsa_uses_dynamic_stack 0
		.amdhsa_system_sgpr_private_segment_wavefront_offset 0
		.amdhsa_system_sgpr_workgroup_id_x 1
		.amdhsa_system_sgpr_workgroup_id_y 1
		.amdhsa_system_sgpr_workgroup_id_z 1
		.amdhsa_system_sgpr_workgroup_info 0
		.amdhsa_system_vgpr_workitem_id 0
		.amdhsa_next_free_vgpr 20
		.amdhsa_next_free_sgpr 48
		.amdhsa_accum_offset 20
		.amdhsa_reserve_vcc 1
		.amdhsa_reserve_flat_scratch 0
		.amdhsa_float_round_mode_32 0
		.amdhsa_float_round_mode_16_64 0
		.amdhsa_float_denorm_mode_32 3
		.amdhsa_float_denorm_mode_16_64 3
		.amdhsa_dx10_clamp 1
		.amdhsa_ieee_mode 1
		.amdhsa_fp16_overflow 0
		.amdhsa_tg_split 0
		.amdhsa_exception_fp_ieee_invalid_op 0
		.amdhsa_exception_fp_denorm_src 0
		.amdhsa_exception_fp_ieee_div_zero 0
		.amdhsa_exception_fp_ieee_overflow 0
		.amdhsa_exception_fp_ieee_underflow 0
		.amdhsa_exception_fp_ieee_inexact 0
		.amdhsa_exception_int_div_zero 0
	.end_amdhsa_kernel
	.section	.text._ZL10k_get_rowsILi32ELi2EXadL_ZL15dequantize_q4_1PKvliR15HIP_vector_typeIfLj2EEEEiEvS1_PKiPT2_llS2_IjLj3EEmmmmmmmmm,"axG",@progbits,_ZL10k_get_rowsILi32ELi2EXadL_ZL15dequantize_q4_1PKvliR15HIP_vector_typeIfLj2EEEEiEvS1_PKiPT2_llS2_IjLj3EEmmmmmmmmm,comdat
.Lfunc_end16:
	.size	_ZL10k_get_rowsILi32ELi2EXadL_ZL15dequantize_q4_1PKvliR15HIP_vector_typeIfLj2EEEEiEvS1_PKiPT2_llS2_IjLj3EEmmmmmmmmm, .Lfunc_end16-_ZL10k_get_rowsILi32ELi2EXadL_ZL15dequantize_q4_1PKvliR15HIP_vector_typeIfLj2EEEEiEvS1_PKiPT2_llS2_IjLj3EEmmmmmmmmm
                                        ; -- End function
	.section	.AMDGPU.csdata,"",@progbits
; Kernel info:
; codeLenInByte = 788
; NumSgprs: 52
; NumVgprs: 20
; NumAgprs: 0
; TotalNumVgprs: 20
; ScratchSize: 0
; MemoryBound: 0
; FloatMode: 240
; IeeeMode: 1
; LDSByteSize: 0 bytes/workgroup (compile time only)
; SGPRBlocks: 6
; VGPRBlocks: 2
; NumSGPRsForWavesPerEU: 52
; NumVGPRsForWavesPerEU: 20
; AccumOffset: 20
; Occupancy: 8
; WaveLimiterHint : 1
; COMPUTE_PGM_RSRC2:SCRATCH_EN: 0
; COMPUTE_PGM_RSRC2:USER_SGPR: 6
; COMPUTE_PGM_RSRC2:TRAP_HANDLER: 0
; COMPUTE_PGM_RSRC2:TGID_X_EN: 1
; COMPUTE_PGM_RSRC2:TGID_Y_EN: 1
; COMPUTE_PGM_RSRC2:TGID_Z_EN: 1
; COMPUTE_PGM_RSRC2:TIDIG_COMP_CNT: 0
; COMPUTE_PGM_RSRC3_GFX90A:ACCUM_OFFSET: 4
; COMPUTE_PGM_RSRC3_GFX90A:TG_SPLIT: 0
	.section	.text._ZL10k_get_rowsILi32ELi2EXadL_ZL15dequantize_q5_0PKvliR15HIP_vector_typeIfLj2EEEEiEvS1_PKiPT2_llS2_IjLj3EEmmmmmmmmm,"axG",@progbits,_ZL10k_get_rowsILi32ELi2EXadL_ZL15dequantize_q5_0PKvliR15HIP_vector_typeIfLj2EEEEiEvS1_PKiPT2_llS2_IjLj3EEmmmmmmmmm,comdat
	.globl	_ZL10k_get_rowsILi32ELi2EXadL_ZL15dequantize_q5_0PKvliR15HIP_vector_typeIfLj2EEEEiEvS1_PKiPT2_llS2_IjLj3EEmmmmmmmmm ; -- Begin function _ZL10k_get_rowsILi32ELi2EXadL_ZL15dequantize_q5_0PKvliR15HIP_vector_typeIfLj2EEEEiEvS1_PKiPT2_llS2_IjLj3EEmmmmmmmmm
	.p2align	8
	.type	_ZL10k_get_rowsILi32ELi2EXadL_ZL15dequantize_q5_0PKvliR15HIP_vector_typeIfLj2EEEEiEvS1_PKiPT2_llS2_IjLj3EEmmmmmmmmm,@function
_ZL10k_get_rowsILi32ELi2EXadL_ZL15dequantize_q5_0PKvliR15HIP_vector_typeIfLj2EEEEiEvS1_PKiPT2_llS2_IjLj3EEmmmmmmmmm: ; @_ZL10k_get_rowsILi32ELi2EXadL_ZL15dequantize_q5_0PKvliR15HIP_vector_typeIfLj2EEEEiEvS1_PKiPT2_llS2_IjLj3EEmmmmmmmmm
; %bb.0:
	s_load_dwordx4 s[28:31], s[4:5], 0x18
	s_load_dwordx2 s[2:3], s[4:5], 0x2c
	s_mov_b32 s9, 0
	v_pk_mov_b32 v[2:3], s[8:9], s[8:9] op_sel:[0,1]
	s_waitcnt lgkmcnt(0)
	s_mul_i32 s0, s3, s31
	s_mul_hi_u32 s1, s3, s30
	s_add_i32 s35, s1, s0
	s_mul_i32 s34, s3, s30
	v_cmp_le_i64_e32 vcc, s[34:35], v[2:3]
	s_cbranch_vccnz .LBB17_6
; %bb.1:
	s_load_dwordx4 s[36:39], s[4:5], 0x0
	s_load_dwordx2 s[42:43], s[4:5], 0x10
	s_load_dwordx2 s[10:11], s[4:5], 0x78
	;; [unrolled: 1-line block ×3, first 2 shown]
	s_load_dword s33, s[4:5], 0x28
	s_load_dwordx16 s[12:27], s[4:5], 0x38
	s_add_u32 s4, s4, 0x80
	s_addc_u32 s5, s5, 0
	s_waitcnt lgkmcnt(0)
	s_and_b32 s31, s31, 0xffff
	s_mul_i32 s7, s7, s31
	v_add_lshl_u32 v0, s7, v0, 1
	s_ashr_i32 s7, s6, 31
	s_mul_i32 s25, s6, s25
	s_mul_hi_u32 s40, s6, s24
	s_add_i32 s25, s40, s25
	s_mul_i32 s40, s7, s24
	s_add_i32 s25, s25, s40
	s_mul_i32 s24, s6, s24
	s_lshl_b64 s[24:25], s[24:25], 2
	s_add_u32 s40, s38, s24
	s_mul_i32 s13, s6, s13
	s_mul_hi_u32 s24, s6, s12
	s_addc_u32 s41, s39, s25
	s_add_i32 s13, s24, s13
	s_mul_i32 s7, s7, s12
	s_add_i32 s7, s13, s7
	s_mul_i32 s6, s6, s12
	s_lshl_b64 s[6:7], s[6:7], 2
	v_mov_b32_e32 v1, 0
	s_add_u32 s42, s42, s6
	v_cmp_gt_i64_e64 s[0:1], s[28:29], v[0:1]
	s_addc_u32 s43, s43, s7
	v_lshlrev_b64 v[2:3], 27, v[0:1]
	s_mov_b32 s44, 0x1000706
	s_movk_i32 s45, 0xffe0
	v_pk_mov_b32 v[4:5], s[34:35], s[34:35] op_sel:[0,1]
	s_mov_b64 s[6:7], s[8:9]
	s_branch .LBB17_3
.LBB17_2:                               ;   in Loop: Header=BB17_3 Depth=1
	s_or_b64 exec, exec, s[12:13]
	s_add_u32 s6, s6, s30
	s_addc_u32 s7, s7, 0
	v_cmp_ge_i64_e32 vcc, s[6:7], v[4:5]
	s_cbranch_vccnz .LBB17_6
.LBB17_3:                               ; =>This Loop Header: Depth=1
                                        ;     Child Loop BB17_5 Depth 2
	s_and_saveexec_b64 s[12:13], s[0:1]
	s_cbranch_execz .LBB17_2
; %bb.4:                                ;   in Loop: Header=BB17_3 Depth=1
	s_mul_hi_u32 s8, s6, s33
	s_add_i32 s8, s8, s6
	s_lshr_b32 s8, s8, s2
	s_mul_i32 s24, s8, s3
	s_sub_i32 s38, s6, s24
	s_ashr_i32 s39, s8, 31
	s_mul_i32 s24, s8, s27
	s_mul_hi_u32 s25, s8, s26
	s_add_i32 s24, s25, s24
	s_mul_i32 s25, s39, s26
	s_ashr_i32 s47, s38, 31
	s_mul_i32 s34, s38, s11
	s_mul_hi_u32 s35, s38, s10
	s_add_i32 s25, s24, s25
	s_mul_i32 s24, s8, s26
	s_add_i32 s34, s35, s34
	s_mul_i32 s35, s47, s10
	s_add_i32 s35, s34, s35
	s_lshl_b64 s[24:25], s[24:25], 2
	s_mul_i32 s34, s38, s10
	s_add_u32 s46, s40, s24
	s_addc_u32 s48, s41, s25
	s_lshl_b64 s[24:25], s[34:35], 2
	s_add_u32 s24, s46, s24
	s_addc_u32 s25, s48, s25
	s_load_dword s34, s[24:25], 0x0
	s_mul_i32 s24, s8, s15
	s_mul_hi_u32 s25, s8, s14
	s_add_i32 s24, s25, s24
	s_mul_i32 s25, s39, s14
	s_add_i32 s25, s24, s25
	s_mul_i32 s24, s8, s14
	s_waitcnt lgkmcnt(0)
	s_ashr_i32 s35, s34, 31
	s_lshl_b64 s[24:25], s[24:25], 2
	s_add_u32 s46, s42, s24
	s_addc_u32 s48, s43, s25
	s_mul_i32 s24, s38, s17
	s_mul_hi_u32 s25, s38, s16
	s_add_i32 s24, s25, s24
	s_mul_i32 s25, s47, s16
	s_add_i32 s25, s24, s25
	s_mul_i32 s24, s38, s16
	s_lshl_b64 s[24:25], s[24:25], 2
	s_add_u32 s46, s46, s24
	s_addc_u32 s48, s48, s25
	s_mul_i32 s24, s34, s19
	s_mul_hi_u32 s25, s34, s18
	s_add_i32 s24, s25, s24
	s_mul_i32 s35, s35, s18
	s_add_i32 s24, s24, s35
	s_mul_i32 s34, s34, s18
	s_add_u32 s25, s36, s34
	s_mul_i32 s34, s8, s21
	s_mul_hi_u32 s35, s8, s20
	s_addc_u32 s24, s37, s24
	s_add_i32 s34, s35, s34
	s_mul_i32 s39, s39, s20
	s_add_i32 s34, s34, s39
	s_mul_i32 s8, s8, s20
	s_add_u32 s8, s25, s8
	s_addc_u32 s25, s24, s34
	s_mul_i32 s24, s38, s23
	s_mul_hi_u32 s34, s38, s22
	s_add_i32 s24, s34, s24
	s_load_dword s34, s[4:5], 0x4
	s_mul_i32 s47, s47, s22
	s_add_i32 s35, s24, s47
	s_mul_i32 s38, s38, s22
	s_add_u32 s24, s8, s38
	s_waitcnt lgkmcnt(0)
	s_mul_i32 s8, s34, s31
	s_addc_u32 s25, s25, s35
	s_lshl_b64 s[34:35], s[8:9], 27
	s_mov_b64 s[38:39], 0
	v_mov_b32_e32 v10, s48
	v_mov_b32_e32 v11, s9
	;; [unrolled: 1-line block ×3, first 2 shown]
	v_pk_mov_b32 v[6:7], v[2:3], v[2:3] op_sel:[0,1]
	v_pk_mov_b32 v[8:9], v[0:1], v[0:1] op_sel:[0,1]
.LBB17_5:                               ;   Parent Loop BB17_3 Depth=1
                                        ; =>  This Inner Loop Header: Depth=2
	v_bfe_u32 v13, v8, 1, 4
	v_mad_i64_i32 v[14:15], s[48:49], v7, 22, s[24:25]
	global_load_dword v16, v[14:15], off
	global_load_ushort v17, v[14:15], off offset:4
	v_add_co_u32_e32 v14, vcc, v14, v13
	v_addc_co_u32_e32 v15, vcc, 0, v15, vcc
	global_load_ubyte v18, v[14:15], off offset:6
	v_add_u32_e32 v19, 12, v13
	v_and_or_b32 v14, v8, s45, v13
	v_add_co_u32_e32 v6, vcc, s34, v6
	v_addc_co_u32_e32 v7, vcc, v7, v12, vcc
	v_add_co_u32_e32 v8, vcc, s8, v8
	v_addc_co_u32_e32 v9, vcc, v9, v11, vcc
	v_ashrrev_i32_e32 v15, 31, v14
	v_cmp_le_i64_e32 vcc, s[28:29], v[8:9]
	v_lshlrev_b64 v[14:15], 2, v[14:15]
	s_or_b64 s[38:39], vcc, s[38:39]
	v_add_co_u32_e32 v14, vcc, s46, v14
	v_addc_co_u32_e32 v15, vcc, v10, v15, vcc
	s_waitcnt vmcnt(2)
	v_cvt_f32_f16_e32 v20, v16
	s_waitcnt vmcnt(1)
	v_perm_b32 v16, v16, v17, s44
	v_lshrrev_b32_e32 v13, v13, v16
	v_lshrrev_b32_e32 v16, v19, v16
	v_lshlrev_b32_e32 v13, 4, v13
	v_and_b32_e32 v16, 16, v16
	s_waitcnt vmcnt(0)
	v_lshrrev_b16_e32 v17, 4, v18
	v_or_b32_e32 v17, -16, v17
	v_or_b32_e32 v18, -16, v18
	v_and_b32_e32 v13, 16, v13
	v_add_u32_sdwa v16, v16, sext(v17) dst_sel:DWORD dst_unused:UNUSED_PAD src0_sel:DWORD src1_sel:WORD_0
	v_add_u32_e32 v13, v18, v13
	v_cvt_f32_i32_e32 v16, v16
	v_cvt_f32_i32_e32 v13, v13
	v_mul_f32_e32 v16, v20, v16
	v_mul_f32_e32 v13, v20, v13
	v_cvt_i32_f32_e32 v16, v16
	v_cvt_i32_f32_e32 v13, v13
	global_store_dword v[14:15], v16, off offset:64
	global_store_dword v[14:15], v13, off
	s_andn2_b64 exec, exec, s[38:39]
	s_cbranch_execnz .LBB17_5
	s_branch .LBB17_2
.LBB17_6:
	s_endpgm
	.section	.rodata,"a",@progbits
	.p2align	6, 0x0
	.amdhsa_kernel _ZL10k_get_rowsILi32ELi2EXadL_ZL15dequantize_q5_0PKvliR15HIP_vector_typeIfLj2EEEEiEvS1_PKiPT2_llS2_IjLj3EEmmmmmmmmm
		.amdhsa_group_segment_fixed_size 0
		.amdhsa_private_segment_fixed_size 0
		.amdhsa_kernarg_size 384
		.amdhsa_user_sgpr_count 6
		.amdhsa_user_sgpr_private_segment_buffer 1
		.amdhsa_user_sgpr_dispatch_ptr 0
		.amdhsa_user_sgpr_queue_ptr 0
		.amdhsa_user_sgpr_kernarg_segment_ptr 1
		.amdhsa_user_sgpr_dispatch_id 0
		.amdhsa_user_sgpr_flat_scratch_init 0
		.amdhsa_user_sgpr_kernarg_preload_length 0
		.amdhsa_user_sgpr_kernarg_preload_offset 0
		.amdhsa_user_sgpr_private_segment_size 0
		.amdhsa_uses_dynamic_stack 0
		.amdhsa_system_sgpr_private_segment_wavefront_offset 0
		.amdhsa_system_sgpr_workgroup_id_x 1
		.amdhsa_system_sgpr_workgroup_id_y 1
		.amdhsa_system_sgpr_workgroup_id_z 1
		.amdhsa_system_sgpr_workgroup_info 0
		.amdhsa_system_vgpr_workitem_id 0
		.amdhsa_next_free_vgpr 21
		.amdhsa_next_free_sgpr 50
		.amdhsa_accum_offset 24
		.amdhsa_reserve_vcc 1
		.amdhsa_reserve_flat_scratch 0
		.amdhsa_float_round_mode_32 0
		.amdhsa_float_round_mode_16_64 0
		.amdhsa_float_denorm_mode_32 3
		.amdhsa_float_denorm_mode_16_64 3
		.amdhsa_dx10_clamp 1
		.amdhsa_ieee_mode 1
		.amdhsa_fp16_overflow 0
		.amdhsa_tg_split 0
		.amdhsa_exception_fp_ieee_invalid_op 0
		.amdhsa_exception_fp_denorm_src 0
		.amdhsa_exception_fp_ieee_div_zero 0
		.amdhsa_exception_fp_ieee_overflow 0
		.amdhsa_exception_fp_ieee_underflow 0
		.amdhsa_exception_fp_ieee_inexact 0
		.amdhsa_exception_int_div_zero 0
	.end_amdhsa_kernel
	.section	.text._ZL10k_get_rowsILi32ELi2EXadL_ZL15dequantize_q5_0PKvliR15HIP_vector_typeIfLj2EEEEiEvS1_PKiPT2_llS2_IjLj3EEmmmmmmmmm,"axG",@progbits,_ZL10k_get_rowsILi32ELi2EXadL_ZL15dequantize_q5_0PKvliR15HIP_vector_typeIfLj2EEEEiEvS1_PKiPT2_llS2_IjLj3EEmmmmmmmmm,comdat
.Lfunc_end17:
	.size	_ZL10k_get_rowsILi32ELi2EXadL_ZL15dequantize_q5_0PKvliR15HIP_vector_typeIfLj2EEEEiEvS1_PKiPT2_llS2_IjLj3EEmmmmmmmmm, .Lfunc_end17-_ZL10k_get_rowsILi32ELi2EXadL_ZL15dequantize_q5_0PKvliR15HIP_vector_typeIfLj2EEEEiEvS1_PKiPT2_llS2_IjLj3EEmmmmmmmmm
                                        ; -- End function
	.section	.AMDGPU.csdata,"",@progbits
; Kernel info:
; codeLenInByte = 856
; NumSgprs: 54
; NumVgprs: 21
; NumAgprs: 0
; TotalNumVgprs: 21
; ScratchSize: 0
; MemoryBound: 0
; FloatMode: 240
; IeeeMode: 1
; LDSByteSize: 0 bytes/workgroup (compile time only)
; SGPRBlocks: 6
; VGPRBlocks: 2
; NumSGPRsForWavesPerEU: 54
; NumVGPRsForWavesPerEU: 21
; AccumOffset: 24
; Occupancy: 8
; WaveLimiterHint : 1
; COMPUTE_PGM_RSRC2:SCRATCH_EN: 0
; COMPUTE_PGM_RSRC2:USER_SGPR: 6
; COMPUTE_PGM_RSRC2:TRAP_HANDLER: 0
; COMPUTE_PGM_RSRC2:TGID_X_EN: 1
; COMPUTE_PGM_RSRC2:TGID_Y_EN: 1
; COMPUTE_PGM_RSRC2:TGID_Z_EN: 1
; COMPUTE_PGM_RSRC2:TIDIG_COMP_CNT: 0
; COMPUTE_PGM_RSRC3_GFX90A:ACCUM_OFFSET: 5
; COMPUTE_PGM_RSRC3_GFX90A:TG_SPLIT: 0
	.section	.text._ZL10k_get_rowsILi32ELi2EXadL_ZL15dequantize_q5_1PKvliR15HIP_vector_typeIfLj2EEEEiEvS1_PKiPT2_llS2_IjLj3EEmmmmmmmmm,"axG",@progbits,_ZL10k_get_rowsILi32ELi2EXadL_ZL15dequantize_q5_1PKvliR15HIP_vector_typeIfLj2EEEEiEvS1_PKiPT2_llS2_IjLj3EEmmmmmmmmm,comdat
	.globl	_ZL10k_get_rowsILi32ELi2EXadL_ZL15dequantize_q5_1PKvliR15HIP_vector_typeIfLj2EEEEiEvS1_PKiPT2_llS2_IjLj3EEmmmmmmmmm ; -- Begin function _ZL10k_get_rowsILi32ELi2EXadL_ZL15dequantize_q5_1PKvliR15HIP_vector_typeIfLj2EEEEiEvS1_PKiPT2_llS2_IjLj3EEmmmmmmmmm
	.p2align	8
	.type	_ZL10k_get_rowsILi32ELi2EXadL_ZL15dequantize_q5_1PKvliR15HIP_vector_typeIfLj2EEEEiEvS1_PKiPT2_llS2_IjLj3EEmmmmmmmmm,@function
_ZL10k_get_rowsILi32ELi2EXadL_ZL15dequantize_q5_1PKvliR15HIP_vector_typeIfLj2EEEEiEvS1_PKiPT2_llS2_IjLj3EEmmmmmmmmm: ; @_ZL10k_get_rowsILi32ELi2EXadL_ZL15dequantize_q5_1PKvliR15HIP_vector_typeIfLj2EEEEiEvS1_PKiPT2_llS2_IjLj3EEmmmmmmmmm
; %bb.0:
	s_load_dwordx4 s[28:31], s[4:5], 0x18
	s_load_dwordx2 s[2:3], s[4:5], 0x2c
	s_mov_b32 s9, 0
	v_pk_mov_b32 v[2:3], s[8:9], s[8:9] op_sel:[0,1]
	s_waitcnt lgkmcnt(0)
	s_mul_i32 s0, s3, s31
	s_mul_hi_u32 s1, s3, s30
	s_add_i32 s35, s1, s0
	s_mul_i32 s34, s3, s30
	v_cmp_le_i64_e32 vcc, s[34:35], v[2:3]
	s_cbranch_vccnz .LBB18_6
; %bb.1:
	s_load_dwordx4 s[36:39], s[4:5], 0x0
	s_load_dwordx2 s[42:43], s[4:5], 0x10
	s_load_dwordx2 s[10:11], s[4:5], 0x78
	;; [unrolled: 1-line block ×3, first 2 shown]
	s_load_dword s33, s[4:5], 0x28
	s_load_dwordx16 s[12:27], s[4:5], 0x38
	s_add_u32 s4, s4, 0x80
	s_addc_u32 s5, s5, 0
	s_waitcnt lgkmcnt(0)
	s_and_b32 s31, s31, 0xffff
	s_mul_i32 s7, s7, s31
	v_add_lshl_u32 v0, s7, v0, 1
	s_ashr_i32 s7, s6, 31
	s_mul_i32 s25, s6, s25
	s_mul_hi_u32 s40, s6, s24
	s_add_i32 s25, s40, s25
	s_mul_i32 s40, s7, s24
	s_add_i32 s25, s25, s40
	s_mul_i32 s24, s6, s24
	s_lshl_b64 s[24:25], s[24:25], 2
	s_add_u32 s40, s38, s24
	s_mul_i32 s13, s6, s13
	s_mul_hi_u32 s24, s6, s12
	s_addc_u32 s41, s39, s25
	s_add_i32 s13, s24, s13
	s_mul_i32 s7, s7, s12
	s_add_i32 s7, s13, s7
	s_mul_i32 s6, s6, s12
	s_lshl_b64 s[6:7], s[6:7], 2
	v_mov_b32_e32 v1, 0
	s_add_u32 s42, s42, s6
	v_cmp_gt_i64_e64 s[0:1], s[28:29], v[0:1]
	s_addc_u32 s43, s43, s7
	v_lshlrev_b64 v[2:3], 27, v[0:1]
	s_movk_i32 s44, 0xffe0
	v_pk_mov_b32 v[4:5], s[34:35], s[34:35] op_sel:[0,1]
	s_mov_b64 s[6:7], s[8:9]
	s_branch .LBB18_3
.LBB18_2:                               ;   in Loop: Header=BB18_3 Depth=1
	s_or_b64 exec, exec, s[12:13]
	s_add_u32 s6, s6, s30
	s_addc_u32 s7, s7, 0
	v_cmp_ge_i64_e32 vcc, s[6:7], v[4:5]
	s_cbranch_vccnz .LBB18_6
.LBB18_3:                               ; =>This Loop Header: Depth=1
                                        ;     Child Loop BB18_5 Depth 2
	s_and_saveexec_b64 s[12:13], s[0:1]
	s_cbranch_execz .LBB18_2
; %bb.4:                                ;   in Loop: Header=BB18_3 Depth=1
	s_mul_hi_u32 s8, s6, s33
	s_add_i32 s8, s8, s6
	s_lshr_b32 s8, s8, s2
	s_mul_i32 s24, s8, s3
	s_sub_i32 s38, s6, s24
	s_ashr_i32 s39, s8, 31
	s_mul_i32 s24, s8, s27
	s_mul_hi_u32 s25, s8, s26
	s_add_i32 s24, s25, s24
	s_mul_i32 s25, s39, s26
	s_ashr_i32 s46, s38, 31
	s_mul_i32 s34, s38, s11
	s_mul_hi_u32 s35, s38, s10
	s_add_i32 s25, s24, s25
	s_mul_i32 s24, s8, s26
	s_add_i32 s34, s35, s34
	s_mul_i32 s35, s46, s10
	s_add_i32 s35, s34, s35
	s_lshl_b64 s[24:25], s[24:25], 2
	s_mul_i32 s34, s38, s10
	s_add_u32 s45, s40, s24
	s_addc_u32 s47, s41, s25
	s_lshl_b64 s[24:25], s[34:35], 2
	s_add_u32 s24, s45, s24
	s_addc_u32 s25, s47, s25
	s_load_dword s34, s[24:25], 0x0
	s_mul_i32 s24, s8, s15
	s_mul_hi_u32 s25, s8, s14
	s_add_i32 s24, s25, s24
	s_mul_i32 s25, s39, s14
	s_add_i32 s25, s24, s25
	s_mul_i32 s24, s8, s14
	s_waitcnt lgkmcnt(0)
	s_ashr_i32 s35, s34, 31
	s_lshl_b64 s[24:25], s[24:25], 2
	s_add_u32 s45, s42, s24
	s_addc_u32 s47, s43, s25
	s_mul_i32 s24, s38, s17
	s_mul_hi_u32 s25, s38, s16
	s_add_i32 s24, s25, s24
	s_mul_i32 s25, s46, s16
	s_add_i32 s25, s24, s25
	s_mul_i32 s24, s38, s16
	s_lshl_b64 s[24:25], s[24:25], 2
	s_add_u32 s45, s45, s24
	s_addc_u32 s47, s47, s25
	s_mul_i32 s24, s34, s19
	s_mul_hi_u32 s25, s34, s18
	s_add_i32 s24, s25, s24
	s_mul_i32 s35, s35, s18
	s_add_i32 s24, s24, s35
	s_mul_i32 s34, s34, s18
	s_add_u32 s25, s36, s34
	s_mul_i32 s34, s8, s21
	s_mul_hi_u32 s35, s8, s20
	s_addc_u32 s24, s37, s24
	s_add_i32 s34, s35, s34
	s_mul_i32 s39, s39, s20
	s_add_i32 s34, s34, s39
	s_mul_i32 s8, s8, s20
	s_add_u32 s8, s25, s8
	s_addc_u32 s25, s24, s34
	s_mul_i32 s24, s38, s23
	s_mul_hi_u32 s34, s38, s22
	s_add_i32 s24, s34, s24
	s_load_dword s34, s[4:5], 0x4
	s_mul_i32 s46, s46, s22
	s_add_i32 s35, s24, s46
	s_mul_i32 s38, s38, s22
	s_add_u32 s24, s8, s38
	s_waitcnt lgkmcnt(0)
	s_mul_i32 s8, s34, s31
	s_addc_u32 s25, s25, s35
	s_lshl_b64 s[34:35], s[8:9], 27
	s_mov_b64 s[38:39], 0
	v_mov_b32_e32 v10, s47
	v_mov_b32_e32 v11, s9
	;; [unrolled: 1-line block ×3, first 2 shown]
	v_pk_mov_b32 v[6:7], v[2:3], v[2:3] op_sel:[0,1]
	v_pk_mov_b32 v[8:9], v[0:1], v[0:1] op_sel:[0,1]
.LBB18_5:                               ;   Parent Loop BB18_3 Depth=1
                                        ; =>  This Inner Loop Header: Depth=2
	v_mad_i64_i32 v[14:15], s[46:47], v7, 24, s[24:25]
	v_bfe_u32 v13, v8, 1, 4
	global_load_dword v16, v[14:15], off
	global_load_ushort v17, v[14:15], off offset:4
	global_load_ushort v18, v[14:15], off offset:6
	v_add_co_u32_e32 v14, vcc, v14, v13
	v_addc_co_u32_e32 v15, vcc, 0, v15, vcc
	global_load_ubyte v19, v[14:15], off offset:8
	v_add_u32_e32 v20, 12, v13
	v_and_or_b32 v14, v8, s44, v13
	v_add_co_u32_e32 v6, vcc, s34, v6
	v_addc_co_u32_e32 v7, vcc, v7, v12, vcc
	v_add_co_u32_e32 v8, vcc, s8, v8
	v_addc_co_u32_e32 v9, vcc, v9, v11, vcc
	v_ashrrev_i32_e32 v15, 31, v14
	v_cmp_le_i64_e32 vcc, s[28:29], v[8:9]
	v_lshlrev_b64 v[14:15], 2, v[14:15]
	s_or_b64 s[38:39], vcc, s[38:39]
	v_add_co_u32_e32 v14, vcc, s45, v14
	v_addc_co_u32_e32 v15, vcc, v10, v15, vcc
	s_waitcnt vmcnt(1)
	v_lshrrev_b16_e32 v21, 8, v18
	v_and_b32_e32 v18, 0xff, v18
	v_lshlrev_b32_e32 v21, 24, v21
	v_lshlrev_b32_e32 v18, 16, v18
	v_or3_b32 v17, v18, v17, v21
	s_waitcnt vmcnt(0)
	v_and_b32_e32 v22, 15, v19
	v_lshrrev_b16_e32 v19, 4, v19
	v_lshrrev_b32_e32 v13, v13, v17
	v_lshrrev_b32_e32 v17, v20, v17
	v_lshlrev_b32_e32 v13, 4, v13
	v_and_or_b32 v17, v17, 16, v19
	v_and_or_b32 v13, v13, 16, v22
	v_cvt_f32_ubyte0_e32 v17, v17
	v_cvt_f32_ubyte0_e32 v13, v13
	v_fma_mix_f32 v17, v16, v17, v16 op_sel:[0,0,1] op_sel_hi:[1,0,1]
	v_fma_mix_f32 v13, v16, v13, v16 op_sel:[0,0,1] op_sel_hi:[1,0,1]
	v_cvt_i32_f32_e32 v16, v17
	v_cvt_i32_f32_e32 v13, v13
	global_store_dword v[14:15], v16, off offset:64
	global_store_dword v[14:15], v13, off
	s_andn2_b64 exec, exec, s[38:39]
	s_cbranch_execnz .LBB18_5
	s_branch .LBB18_2
.LBB18_6:
	s_endpgm
	.section	.rodata,"a",@progbits
	.p2align	6, 0x0
	.amdhsa_kernel _ZL10k_get_rowsILi32ELi2EXadL_ZL15dequantize_q5_1PKvliR15HIP_vector_typeIfLj2EEEEiEvS1_PKiPT2_llS2_IjLj3EEmmmmmmmmm
		.amdhsa_group_segment_fixed_size 0
		.amdhsa_private_segment_fixed_size 0
		.amdhsa_kernarg_size 384
		.amdhsa_user_sgpr_count 6
		.amdhsa_user_sgpr_private_segment_buffer 1
		.amdhsa_user_sgpr_dispatch_ptr 0
		.amdhsa_user_sgpr_queue_ptr 0
		.amdhsa_user_sgpr_kernarg_segment_ptr 1
		.amdhsa_user_sgpr_dispatch_id 0
		.amdhsa_user_sgpr_flat_scratch_init 0
		.amdhsa_user_sgpr_kernarg_preload_length 0
		.amdhsa_user_sgpr_kernarg_preload_offset 0
		.amdhsa_user_sgpr_private_segment_size 0
		.amdhsa_uses_dynamic_stack 0
		.amdhsa_system_sgpr_private_segment_wavefront_offset 0
		.amdhsa_system_sgpr_workgroup_id_x 1
		.amdhsa_system_sgpr_workgroup_id_y 1
		.amdhsa_system_sgpr_workgroup_id_z 1
		.amdhsa_system_sgpr_workgroup_info 0
		.amdhsa_system_vgpr_workitem_id 0
		.amdhsa_next_free_vgpr 23
		.amdhsa_next_free_sgpr 48
		.amdhsa_accum_offset 24
		.amdhsa_reserve_vcc 1
		.amdhsa_reserve_flat_scratch 0
		.amdhsa_float_round_mode_32 0
		.amdhsa_float_round_mode_16_64 0
		.amdhsa_float_denorm_mode_32 3
		.amdhsa_float_denorm_mode_16_64 3
		.amdhsa_dx10_clamp 1
		.amdhsa_ieee_mode 1
		.amdhsa_fp16_overflow 0
		.amdhsa_tg_split 0
		.amdhsa_exception_fp_ieee_invalid_op 0
		.amdhsa_exception_fp_denorm_src 0
		.amdhsa_exception_fp_ieee_div_zero 0
		.amdhsa_exception_fp_ieee_overflow 0
		.amdhsa_exception_fp_ieee_underflow 0
		.amdhsa_exception_fp_ieee_inexact 0
		.amdhsa_exception_int_div_zero 0
	.end_amdhsa_kernel
	.section	.text._ZL10k_get_rowsILi32ELi2EXadL_ZL15dequantize_q5_1PKvliR15HIP_vector_typeIfLj2EEEEiEvS1_PKiPT2_llS2_IjLj3EEmmmmmmmmm,"axG",@progbits,_ZL10k_get_rowsILi32ELi2EXadL_ZL15dequantize_q5_1PKvliR15HIP_vector_typeIfLj2EEEEiEvS1_PKiPT2_llS2_IjLj3EEmmmmmmmmm,comdat
.Lfunc_end18:
	.size	_ZL10k_get_rowsILi32ELi2EXadL_ZL15dequantize_q5_1PKvliR15HIP_vector_typeIfLj2EEEEiEvS1_PKiPT2_llS2_IjLj3EEmmmmmmmmm, .Lfunc_end18-_ZL10k_get_rowsILi32ELi2EXadL_ZL15dequantize_q5_1PKvliR15HIP_vector_typeIfLj2EEEEiEvS1_PKiPT2_llS2_IjLj3EEmmmmmmmmm
                                        ; -- End function
	.section	.AMDGPU.csdata,"",@progbits
; Kernel info:
; codeLenInByte = 868
; NumSgprs: 52
; NumVgprs: 23
; NumAgprs: 0
; TotalNumVgprs: 23
; ScratchSize: 0
; MemoryBound: 0
; FloatMode: 240
; IeeeMode: 1
; LDSByteSize: 0 bytes/workgroup (compile time only)
; SGPRBlocks: 6
; VGPRBlocks: 2
; NumSGPRsForWavesPerEU: 52
; NumVGPRsForWavesPerEU: 23
; AccumOffset: 24
; Occupancy: 8
; WaveLimiterHint : 1
; COMPUTE_PGM_RSRC2:SCRATCH_EN: 0
; COMPUTE_PGM_RSRC2:USER_SGPR: 6
; COMPUTE_PGM_RSRC2:TRAP_HANDLER: 0
; COMPUTE_PGM_RSRC2:TGID_X_EN: 1
; COMPUTE_PGM_RSRC2:TGID_Y_EN: 1
; COMPUTE_PGM_RSRC2:TGID_Z_EN: 1
; COMPUTE_PGM_RSRC2:TIDIG_COMP_CNT: 0
; COMPUTE_PGM_RSRC3_GFX90A:ACCUM_OFFSET: 5
; COMPUTE_PGM_RSRC3_GFX90A:TG_SPLIT: 0
	.section	.text._ZL10k_get_rowsILi32ELi1EXadL_ZL15dequantize_q8_0PKvliR15HIP_vector_typeIfLj2EEEEiEvS1_PKiPT2_llS2_IjLj3EEmmmmmmmmm,"axG",@progbits,_ZL10k_get_rowsILi32ELi1EXadL_ZL15dequantize_q8_0PKvliR15HIP_vector_typeIfLj2EEEEiEvS1_PKiPT2_llS2_IjLj3EEmmmmmmmmm,comdat
	.globl	_ZL10k_get_rowsILi32ELi1EXadL_ZL15dequantize_q8_0PKvliR15HIP_vector_typeIfLj2EEEEiEvS1_PKiPT2_llS2_IjLj3EEmmmmmmmmm ; -- Begin function _ZL10k_get_rowsILi32ELi1EXadL_ZL15dequantize_q8_0PKvliR15HIP_vector_typeIfLj2EEEEiEvS1_PKiPT2_llS2_IjLj3EEmmmmmmmmm
	.p2align	8
	.type	_ZL10k_get_rowsILi32ELi1EXadL_ZL15dequantize_q8_0PKvliR15HIP_vector_typeIfLj2EEEEiEvS1_PKiPT2_llS2_IjLj3EEmmmmmmmmm,@function
_ZL10k_get_rowsILi32ELi1EXadL_ZL15dequantize_q8_0PKvliR15HIP_vector_typeIfLj2EEEEiEvS1_PKiPT2_llS2_IjLj3EEmmmmmmmmm: ; @_ZL10k_get_rowsILi32ELi1EXadL_ZL15dequantize_q8_0PKvliR15HIP_vector_typeIfLj2EEEEiEvS1_PKiPT2_llS2_IjLj3EEmmmmmmmmm
; %bb.0:
	s_load_dwordx4 s[28:31], s[4:5], 0x18
	s_load_dwordx2 s[2:3], s[4:5], 0x2c
	s_mov_b32 s9, 0
	v_pk_mov_b32 v[2:3], s[8:9], s[8:9] op_sel:[0,1]
	s_waitcnt lgkmcnt(0)
	s_mul_i32 s0, s3, s31
	s_mul_hi_u32 s1, s3, s30
	s_add_i32 s35, s1, s0
	s_mul_i32 s34, s3, s30
	v_cmp_le_i64_e32 vcc, s[34:35], v[2:3]
	s_cbranch_vccnz .LBB19_6
; %bb.1:
	s_load_dwordx4 s[36:39], s[4:5], 0x0
	s_load_dwordx2 s[42:43], s[4:5], 0x10
	s_load_dwordx2 s[10:11], s[4:5], 0x78
	;; [unrolled: 1-line block ×3, first 2 shown]
	s_load_dword s33, s[4:5], 0x28
	s_load_dwordx16 s[12:27], s[4:5], 0x38
	s_add_u32 s4, s4, 0x80
	s_addc_u32 s5, s5, 0
	s_waitcnt lgkmcnt(0)
	s_and_b32 s31, s31, 0xffff
	s_mul_i32 s7, s7, s31
	v_add_lshl_u32 v0, s7, v0, 1
	s_ashr_i32 s7, s6, 31
	s_mul_i32 s25, s6, s25
	s_mul_hi_u32 s40, s6, s24
	s_add_i32 s25, s40, s25
	s_mul_i32 s40, s7, s24
	s_add_i32 s25, s25, s40
	s_mul_i32 s24, s6, s24
	s_lshl_b64 s[24:25], s[24:25], 2
	s_add_u32 s40, s38, s24
	s_mul_i32 s13, s6, s13
	s_mul_hi_u32 s24, s6, s12
	s_addc_u32 s41, s39, s25
	s_add_i32 s13, s24, s13
	s_mul_i32 s7, s7, s12
	s_add_i32 s7, s13, s7
	s_mul_i32 s6, s6, s12
	s_lshl_b64 s[6:7], s[6:7], 2
	v_mov_b32_e32 v1, 0
	s_add_u32 s42, s42, s6
	v_cmp_gt_i64_e64 s[0:1], s[28:29], v[0:1]
	s_addc_u32 s43, s43, s7
	v_lshlrev_b64 v[2:3], 27, v[0:1]
	v_mov_b32_e32 v4, v1
	v_mov_b32_e32 v5, v0
	v_pk_mov_b32 v[6:7], s[34:35], s[34:35] op_sel:[0,1]
	s_mov_b64 s[6:7], s[8:9]
	s_branch .LBB19_3
.LBB19_2:                               ;   in Loop: Header=BB19_3 Depth=1
	s_or_b64 exec, exec, s[12:13]
	s_add_u32 s6, s6, s30
	s_addc_u32 s7, s7, 0
	v_cmp_ge_i64_e32 vcc, s[6:7], v[6:7]
	s_cbranch_vccnz .LBB19_6
.LBB19_3:                               ; =>This Loop Header: Depth=1
                                        ;     Child Loop BB19_5 Depth 2
	s_and_saveexec_b64 s[12:13], s[0:1]
	s_cbranch_execz .LBB19_2
; %bb.4:                                ;   in Loop: Header=BB19_3 Depth=1
	s_mul_hi_u32 s8, s6, s33
	s_add_i32 s8, s8, s6
	s_lshr_b32 s8, s8, s2
	s_mul_i32 s24, s8, s3
	s_sub_i32 s38, s6, s24
	s_ashr_i32 s39, s8, 31
	s_mul_i32 s24, s8, s27
	s_mul_hi_u32 s25, s8, s26
	s_add_i32 s24, s25, s24
	s_mul_i32 s25, s39, s26
	s_ashr_i32 s45, s38, 31
	s_mul_i32 s34, s38, s11
	s_mul_hi_u32 s35, s38, s10
	s_add_i32 s25, s24, s25
	s_mul_i32 s24, s8, s26
	s_add_i32 s34, s35, s34
	s_mul_i32 s35, s45, s10
	s_add_i32 s35, s34, s35
	s_lshl_b64 s[24:25], s[24:25], 2
	s_mul_i32 s34, s38, s10
	s_add_u32 s44, s40, s24
	s_addc_u32 s46, s41, s25
	s_lshl_b64 s[24:25], s[34:35], 2
	s_add_u32 s24, s44, s24
	s_addc_u32 s25, s46, s25
	s_load_dword s34, s[24:25], 0x0
	s_mul_i32 s24, s8, s15
	s_mul_hi_u32 s25, s8, s14
	s_add_i32 s24, s25, s24
	s_mul_i32 s25, s39, s14
	s_add_i32 s25, s24, s25
	s_mul_i32 s24, s8, s14
	s_waitcnt lgkmcnt(0)
	s_ashr_i32 s35, s34, 31
	s_lshl_b64 s[24:25], s[24:25], 2
	s_add_u32 s44, s42, s24
	s_addc_u32 s46, s43, s25
	s_mul_i32 s24, s38, s17
	s_mul_hi_u32 s25, s38, s16
	s_add_i32 s24, s25, s24
	s_mul_i32 s25, s45, s16
	s_add_i32 s25, s24, s25
	s_mul_i32 s24, s38, s16
	s_lshl_b64 s[24:25], s[24:25], 2
	s_add_u32 s44, s44, s24
	s_addc_u32 s46, s46, s25
	s_mul_i32 s24, s34, s19
	s_mul_hi_u32 s25, s34, s18
	s_add_i32 s24, s25, s24
	s_mul_i32 s35, s35, s18
	s_add_i32 s24, s24, s35
	s_mul_i32 s34, s34, s18
	s_add_u32 s25, s36, s34
	s_mul_i32 s34, s8, s21
	s_mul_hi_u32 s35, s8, s20
	s_addc_u32 s24, s37, s24
	s_add_i32 s34, s35, s34
	s_mul_i32 s39, s39, s20
	s_add_i32 s34, s34, s39
	s_mul_i32 s8, s8, s20
	s_add_u32 s8, s25, s8
	s_addc_u32 s25, s24, s34
	s_mul_i32 s24, s38, s23
	s_mul_hi_u32 s34, s38, s22
	s_add_i32 s24, s34, s24
	s_load_dword s34, s[4:5], 0x4
	s_mul_i32 s45, s45, s22
	s_add_i32 s35, s24, s45
	s_mul_i32 s38, s38, s22
	s_add_u32 s24, s8, s38
	s_waitcnt lgkmcnt(0)
	s_mul_i32 s8, s34, s31
	s_addc_u32 s25, s25, s35
	s_lshl_b64 s[34:35], s[8:9], 27
	s_mov_b64 s[38:39], 0
	v_mov_b32_e32 v14, s46
	v_mov_b32_e32 v15, s9
	;; [unrolled: 1-line block ×4, first 2 shown]
	v_pk_mov_b32 v[8:9], v[4:5], v[4:5] op_sel:[0,1]
	v_pk_mov_b32 v[10:11], v[2:3], v[2:3] op_sel:[0,1]
	;; [unrolled: 1-line block ×3, first 2 shown]
.LBB19_5:                               ;   Parent Loop BB19_3 Depth=1
                                        ; =>  This Inner Loop Header: Depth=2
	v_and_b32_e32 v20, 31, v12
	v_mad_i64_i32 v[18:19], s[46:47], v11, 34, s[24:25]
	v_add_co_u32_e32 v20, vcc, v18, v20
	v_addc_co_u32_e32 v21, vcc, 0, v19, vcc
	global_load_ushort v22, v[18:19], off
	global_load_ushort v23, v[20:21], off offset:2
	v_add_co_u32_e32 v12, vcc, s8, v12
	v_addc_co_u32_e32 v13, vcc, v13, v15, vcc
	v_add_co_u32_e32 v10, vcc, s34, v10
	v_addc_co_u32_e32 v11, vcc, v11, v16, vcc
	v_ashrrev_i64 v[18:19], 30, v[8:9]
	v_add_co_u32_e32 v8, vcc, 0, v8
	v_addc_co_u32_e32 v9, vcc, v9, v17, vcc
	v_add_co_u32_e32 v18, vcc, s44, v18
	v_addc_co_u32_e32 v19, vcc, v14, v19, vcc
	v_cmp_le_i64_e32 vcc, s[28:29], v[12:13]
	s_or_b64 s[38:39], vcc, s[38:39]
	s_waitcnt vmcnt(1)
	v_cvt_f32_f16_e32 v20, v22
	s_waitcnt vmcnt(0)
	v_bfe_i32 v21, v23, 0, 8
	v_ashrrev_i16_e32 v22, 8, v23
	v_cvt_f32_i32_sdwa v23, sext(v22) dst_sel:DWORD dst_unused:UNUSED_PAD src0_sel:WORD_0
	v_cvt_f32_i32_sdwa v22, sext(v21) dst_sel:DWORD dst_unused:UNUSED_PAD src0_sel:WORD_0
	v_pk_mul_f32 v[20:21], v[20:21], v[22:23] op_sel_hi:[0,1]
	v_cvt_i32_f32_e32 v21, v21
	v_cvt_i32_f32_e32 v20, v20
	global_store_dwordx2 v[18:19], v[20:21], off
	s_andn2_b64 exec, exec, s[38:39]
	s_cbranch_execnz .LBB19_5
	s_branch .LBB19_2
.LBB19_6:
	s_endpgm
	.section	.rodata,"a",@progbits
	.p2align	6, 0x0
	.amdhsa_kernel _ZL10k_get_rowsILi32ELi1EXadL_ZL15dequantize_q8_0PKvliR15HIP_vector_typeIfLj2EEEEiEvS1_PKiPT2_llS2_IjLj3EEmmmmmmmmm
		.amdhsa_group_segment_fixed_size 0
		.amdhsa_private_segment_fixed_size 0
		.amdhsa_kernarg_size 384
		.amdhsa_user_sgpr_count 6
		.amdhsa_user_sgpr_private_segment_buffer 1
		.amdhsa_user_sgpr_dispatch_ptr 0
		.amdhsa_user_sgpr_queue_ptr 0
		.amdhsa_user_sgpr_kernarg_segment_ptr 1
		.amdhsa_user_sgpr_dispatch_id 0
		.amdhsa_user_sgpr_flat_scratch_init 0
		.amdhsa_user_sgpr_kernarg_preload_length 0
		.amdhsa_user_sgpr_kernarg_preload_offset 0
		.amdhsa_user_sgpr_private_segment_size 0
		.amdhsa_uses_dynamic_stack 0
		.amdhsa_system_sgpr_private_segment_wavefront_offset 0
		.amdhsa_system_sgpr_workgroup_id_x 1
		.amdhsa_system_sgpr_workgroup_id_y 1
		.amdhsa_system_sgpr_workgroup_id_z 1
		.amdhsa_system_sgpr_workgroup_info 0
		.amdhsa_system_vgpr_workitem_id 0
		.amdhsa_next_free_vgpr 24
		.amdhsa_next_free_sgpr 48
		.amdhsa_accum_offset 24
		.amdhsa_reserve_vcc 1
		.amdhsa_reserve_flat_scratch 0
		.amdhsa_float_round_mode_32 0
		.amdhsa_float_round_mode_16_64 0
		.amdhsa_float_denorm_mode_32 3
		.amdhsa_float_denorm_mode_16_64 3
		.amdhsa_dx10_clamp 1
		.amdhsa_ieee_mode 1
		.amdhsa_fp16_overflow 0
		.amdhsa_tg_split 0
		.amdhsa_exception_fp_ieee_invalid_op 0
		.amdhsa_exception_fp_denorm_src 0
		.amdhsa_exception_fp_ieee_div_zero 0
		.amdhsa_exception_fp_ieee_overflow 0
		.amdhsa_exception_fp_ieee_underflow 0
		.amdhsa_exception_fp_ieee_inexact 0
		.amdhsa_exception_int_div_zero 0
	.end_amdhsa_kernel
	.section	.text._ZL10k_get_rowsILi32ELi1EXadL_ZL15dequantize_q8_0PKvliR15HIP_vector_typeIfLj2EEEEiEvS1_PKiPT2_llS2_IjLj3EEmmmmmmmmm,"axG",@progbits,_ZL10k_get_rowsILi32ELi1EXadL_ZL15dequantize_q8_0PKvliR15HIP_vector_typeIfLj2EEEEiEvS1_PKiPT2_llS2_IjLj3EEmmmmmmmmm,comdat
.Lfunc_end19:
	.size	_ZL10k_get_rowsILi32ELi1EXadL_ZL15dequantize_q8_0PKvliR15HIP_vector_typeIfLj2EEEEiEvS1_PKiPT2_llS2_IjLj3EEmmmmmmmmm, .Lfunc_end19-_ZL10k_get_rowsILi32ELi1EXadL_ZL15dequantize_q8_0PKvliR15HIP_vector_typeIfLj2EEEEiEvS1_PKiPT2_llS2_IjLj3EEmmmmmmmmm
                                        ; -- End function
	.section	.AMDGPU.csdata,"",@progbits
; Kernel info:
; codeLenInByte = 800
; NumSgprs: 52
; NumVgprs: 24
; NumAgprs: 0
; TotalNumVgprs: 24
; ScratchSize: 0
; MemoryBound: 0
; FloatMode: 240
; IeeeMode: 1
; LDSByteSize: 0 bytes/workgroup (compile time only)
; SGPRBlocks: 6
; VGPRBlocks: 2
; NumSGPRsForWavesPerEU: 52
; NumVGPRsForWavesPerEU: 24
; AccumOffset: 24
; Occupancy: 8
; WaveLimiterHint : 1
; COMPUTE_PGM_RSRC2:SCRATCH_EN: 0
; COMPUTE_PGM_RSRC2:USER_SGPR: 6
; COMPUTE_PGM_RSRC2:TRAP_HANDLER: 0
; COMPUTE_PGM_RSRC2:TGID_X_EN: 1
; COMPUTE_PGM_RSRC2:TGID_Y_EN: 1
; COMPUTE_PGM_RSRC2:TGID_Z_EN: 1
; COMPUTE_PGM_RSRC2:TIDIG_COMP_CNT: 0
; COMPUTE_PGM_RSRC3_GFX90A:ACCUM_OFFSET: 5
; COMPUTE_PGM_RSRC3_GFX90A:TG_SPLIT: 0
	.section	.text._ZL16k_get_rows_floatI6__halfS0_EvPKT_PKiPT0_ll15HIP_vector_typeIjLj3EEmmmmmmmmm,"axG",@progbits,_ZL16k_get_rows_floatI6__halfS0_EvPKT_PKiPT0_ll15HIP_vector_typeIjLj3EEmmmmmmmmm,comdat
	.globl	_ZL16k_get_rows_floatI6__halfS0_EvPKT_PKiPT0_ll15HIP_vector_typeIjLj3EEmmmmmmmmm ; -- Begin function _ZL16k_get_rows_floatI6__halfS0_EvPKT_PKiPT0_ll15HIP_vector_typeIjLj3EEmmmmmmmmm
	.p2align	8
	.type	_ZL16k_get_rows_floatI6__halfS0_EvPKT_PKiPT0_ll15HIP_vector_typeIjLj3EEmmmmmmmmm,@function
_ZL16k_get_rows_floatI6__halfS0_EvPKT_PKiPT0_ll15HIP_vector_typeIjLj3EEmmmmmmmmm: ; @_ZL16k_get_rows_floatI6__halfS0_EvPKT_PKiPT0_ll15HIP_vector_typeIjLj3EEmmmmmmmmm
; %bb.0:
	s_load_dwordx2 s[0:1], s[4:5], 0x20
	s_load_dwordx2 s[2:3], s[4:5], 0x2c
	s_mov_b32 s9, 0
	v_pk_mov_b32 v[2:3], s[8:9], s[8:9] op_sel:[0,1]
	s_waitcnt lgkmcnt(0)
	s_mul_i32 s1, s3, s1
	s_mul_hi_u32 s10, s3, s0
	s_add_i32 s31, s10, s1
	s_mul_i32 s30, s3, s0
	v_cmp_le_i64_e32 vcc, s[30:31], v[2:3]
	s_cbranch_vccnz .LBB20_6
; %bb.1:
	s_load_dwordx8 s[36:43], s[4:5], 0x0
	s_load_dwordx2 s[10:11], s[4:5], 0x78
	s_load_dwordx2 s[28:29], s[4:5], 0x88
	s_load_dword s33, s[4:5], 0x28
	s_load_dwordx16 s[12:27], s[4:5], 0x38
	s_add_u32 s4, s4, 0x80
	s_addc_u32 s5, s5, 0
	s_waitcnt lgkmcnt(0)
	s_and_b32 s29, s29, 0xffff
	s_mul_i32 s7, s7, s29
	v_add_u32_e32 v0, s7, v0
	s_ashr_i32 s7, s6, 31
	s_mul_i32 s25, s6, s25
	s_mul_hi_u32 s34, s6, s24
	s_add_i32 s25, s34, s25
	s_mul_i32 s34, s7, s24
	s_add_i32 s25, s25, s34
	s_mul_i32 s24, s6, s24
	s_lshl_b64 s[24:25], s[24:25], 2
	s_add_u32 s38, s38, s24
	s_mul_hi_u32 s24, s12, s6
	s_mul_i32 s7, s12, s7
	s_addc_u32 s39, s39, s25
	s_add_i32 s7, s24, s7
	s_mul_i32 s13, s13, s6
	s_add_i32 s7, s7, s13
	s_mul_i32 s6, s12, s6
	s_lshl_b64 s[6:7], s[6:7], 1
	v_mov_b32_e32 v1, 0
	s_add_u32 s6, s40, s6
	v_lshlrev_b64 v[2:3], 1, v[0:1]
	s_addc_u32 s7, s41, s7
	v_mov_b32_e32 v4, s7
	v_add_co_u32_e32 v6, vcc, s6, v2
	v_addc_co_u32_e32 v7, vcc, v4, v3, vcc
	v_mov_b32_e32 v4, s37
	v_add_co_u32_e32 v8, vcc, s36, v2
	v_cmp_gt_i64_e64 s[0:1], s[42:43], v[0:1]
	s_lshl_b64 s[6:7], s[14:15], 1
	s_lshl_b64 s[12:13], s[16:17], 1
	v_addc_co_u32_e32 v9, vcc, v4, v3, vcc
	v_pk_mov_b32 v[2:3], s[30:31], s[30:31] op_sel:[0,1]
	s_mov_b64 s[14:15], s[8:9]
	s_branch .LBB20_3
.LBB20_2:                               ;   in Loop: Header=BB20_3 Depth=1
	s_or_b64 exec, exec, s[16:17]
	s_add_u32 s14, s14, s28
	s_addc_u32 s15, s15, 0
	v_cmp_lt_i64_e32 vcc, s[14:15], v[2:3]
	s_cbranch_vccz .LBB20_6
.LBB20_3:                               ; =>This Loop Header: Depth=1
                                        ;     Child Loop BB20_5 Depth 2
	s_and_saveexec_b64 s[16:17], s[0:1]
	s_cbranch_execz .LBB20_2
; %bb.4:                                ;   in Loop: Header=BB20_3 Depth=1
	s_mul_hi_u32 s8, s14, s33
	s_add_i32 s8, s8, s14
	s_lshr_b32 s34, s8, s2
	s_mul_i32 s8, s34, s3
	s_sub_i32 s35, s14, s8
	s_ashr_i32 s36, s34, 31
	s_mul_i32 s8, s34, s27
	s_mul_hi_u32 s24, s34, s26
	s_add_i32 s8, s24, s8
	s_mul_i32 s24, s36, s26
	s_add_i32 s25, s8, s24
	s_ashr_i32 s37, s35, 31
	s_mul_i32 s8, s35, s11
	s_mul_hi_u32 s30, s35, s10
	s_mul_i32 s24, s34, s26
	s_add_i32 s8, s30, s8
	s_mul_i32 s30, s37, s10
	s_add_i32 s31, s8, s30
	s_lshl_b64 s[24:25], s[24:25], 2
	s_mul_i32 s30, s35, s10
	s_add_u32 s8, s38, s24
	s_addc_u32 s40, s39, s25
	s_lshl_b64 s[24:25], s[30:31], 2
	s_load_dword s31, s[4:5], 0x4
	s_add_u32 s24, s8, s24
	s_mul_i32 s8, s34, s21
	s_mul_hi_u32 s30, s34, s20
	s_addc_u32 s25, s40, s25
	s_add_i32 s8, s30, s8
	s_mul_i32 s30, s36, s20
	s_add_i32 s40, s8, s30
	s_waitcnt lgkmcnt(0)
	s_mul_i32 s8, s31, s29
	s_mul_i32 s30, s6, s36
	s_mul_hi_u32 s31, s6, s34
	s_add_i32 s30, s31, s30
	s_mul_i32 s31, s7, s34
	s_mul_i32 s41, s34, s20
	s_add_i32 s30, s30, s31
	s_mul_i32 s31, s6, s34
	s_mul_i32 s34, s12, s37
	s_mul_hi_u32 s36, s12, s35
	s_add_i32 s34, s36, s34
	s_mul_i32 s36, s13, s35
	s_add_i32 s34, s34, s36
	s_mul_i32 s36, s12, s35
	s_add_u32 s31, s31, s36
	s_addc_u32 s30, s30, s34
	s_mul_i32 s34, s22, s37
	s_mul_hi_u32 s36, s22, s35
	s_add_i32 s34, s36, s34
	s_mul_i32 s36, s23, s35
	v_mov_b32_e32 v4, s30
	v_add_co_u32_e32 v10, vcc, s31, v6
	s_lshl_b64 s[30:31], s[8:9], 1
	s_add_i32 s34, s34, s36
	s_mul_i32 s35, s22, s35
	s_add_u32 s35, s41, s35
	v_addc_co_u32_e32 v11, vcc, v7, v4, vcc
	s_addc_u32 s34, s40, s34
	v_mov_b32_e32 v4, s34
	v_add_co_u32_e32 v12, vcc, s35, v8
	v_addc_co_u32_e32 v13, vcc, v9, v4, vcc
	s_mov_b64 s[34:35], 0
	v_mov_b32_e32 v14, s9
	s_mov_b64 s[36:37], 0
	v_pk_mov_b32 v[4:5], v[0:1], v[0:1] op_sel:[0,1]
.LBB20_5:                               ;   Parent Loop BB20_3 Depth=1
                                        ; =>  This Inner Loop Header: Depth=2
	global_load_dword v15, v1, s[24:25]
	v_mov_b32_e32 v16, s37
	s_waitcnt vmcnt(0)
	v_ashrrev_i32_e32 v17, 31, v15
	v_mul_lo_u32 v18, v15, s19
	v_mul_hi_u32 v19, v15, s18
	v_mul_lo_u32 v15, v15, s18
	v_add_u32_e32 v18, v19, v18
	v_mul_lo_u32 v17, v17, s18
	v_add_u32_e32 v17, v18, v17
	v_add_co_u32_e32 v15, vcc, s36, v15
	v_addc_co_u32_e32 v17, vcc, v16, v17, vcc
	v_add_co_u32_e32 v16, vcc, v12, v15
	v_addc_co_u32_e32 v17, vcc, v13, v17, vcc
	global_load_ushort v15, v[16:17], off
	v_add_co_u32_e32 v4, vcc, s8, v4
	v_addc_co_u32_e32 v5, vcc, v5, v14, vcc
	v_mov_b32_e32 v17, s37
	v_add_co_u32_e32 v16, vcc, s36, v10
	v_addc_co_u32_e32 v17, vcc, v11, v17, vcc
	s_add_u32 s36, s36, s30
	v_cmp_le_i64_e32 vcc, s[42:43], v[4:5]
	s_addc_u32 s37, s37, s31
	s_or_b64 s[34:35], vcc, s[34:35]
	s_waitcnt vmcnt(0)
	global_store_short v[16:17], v15, off
	s_andn2_b64 exec, exec, s[34:35]
	s_cbranch_execnz .LBB20_5
	s_branch .LBB20_2
.LBB20_6:
	s_endpgm
	.section	.rodata,"a",@progbits
	.p2align	6, 0x0
	.amdhsa_kernel _ZL16k_get_rows_floatI6__halfS0_EvPKT_PKiPT0_ll15HIP_vector_typeIjLj3EEmmmmmmmmm
		.amdhsa_group_segment_fixed_size 0
		.amdhsa_private_segment_fixed_size 0
		.amdhsa_kernarg_size 384
		.amdhsa_user_sgpr_count 6
		.amdhsa_user_sgpr_private_segment_buffer 1
		.amdhsa_user_sgpr_dispatch_ptr 0
		.amdhsa_user_sgpr_queue_ptr 0
		.amdhsa_user_sgpr_kernarg_segment_ptr 1
		.amdhsa_user_sgpr_dispatch_id 0
		.amdhsa_user_sgpr_flat_scratch_init 0
		.amdhsa_user_sgpr_kernarg_preload_length 0
		.amdhsa_user_sgpr_kernarg_preload_offset 0
		.amdhsa_user_sgpr_private_segment_size 0
		.amdhsa_uses_dynamic_stack 0
		.amdhsa_system_sgpr_private_segment_wavefront_offset 0
		.amdhsa_system_sgpr_workgroup_id_x 1
		.amdhsa_system_sgpr_workgroup_id_y 1
		.amdhsa_system_sgpr_workgroup_id_z 1
		.amdhsa_system_sgpr_workgroup_info 0
		.amdhsa_system_vgpr_workitem_id 0
		.amdhsa_next_free_vgpr 20
		.amdhsa_next_free_sgpr 44
		.amdhsa_accum_offset 20
		.amdhsa_reserve_vcc 1
		.amdhsa_reserve_flat_scratch 0
		.amdhsa_float_round_mode_32 0
		.amdhsa_float_round_mode_16_64 0
		.amdhsa_float_denorm_mode_32 3
		.amdhsa_float_denorm_mode_16_64 3
		.amdhsa_dx10_clamp 1
		.amdhsa_ieee_mode 1
		.amdhsa_fp16_overflow 0
		.amdhsa_tg_split 0
		.amdhsa_exception_fp_ieee_invalid_op 0
		.amdhsa_exception_fp_denorm_src 0
		.amdhsa_exception_fp_ieee_div_zero 0
		.amdhsa_exception_fp_ieee_overflow 0
		.amdhsa_exception_fp_ieee_underflow 0
		.amdhsa_exception_fp_ieee_inexact 0
		.amdhsa_exception_int_div_zero 0
	.end_amdhsa_kernel
	.section	.text._ZL16k_get_rows_floatI6__halfS0_EvPKT_PKiPT0_ll15HIP_vector_typeIjLj3EEmmmmmmmmm,"axG",@progbits,_ZL16k_get_rows_floatI6__halfS0_EvPKT_PKiPT0_ll15HIP_vector_typeIjLj3EEmmmmmmmmm,comdat
.Lfunc_end20:
	.size	_ZL16k_get_rows_floatI6__halfS0_EvPKT_PKiPT0_ll15HIP_vector_typeIjLj3EEmmmmmmmmm, .Lfunc_end20-_ZL16k_get_rows_floatI6__halfS0_EvPKT_PKiPT0_ll15HIP_vector_typeIjLj3EEmmmmmmmmm
                                        ; -- End function
	.section	.AMDGPU.csdata,"",@progbits
; Kernel info:
; codeLenInByte = 724
; NumSgprs: 48
; NumVgprs: 20
; NumAgprs: 0
; TotalNumVgprs: 20
; ScratchSize: 0
; MemoryBound: 0
; FloatMode: 240
; IeeeMode: 1
; LDSByteSize: 0 bytes/workgroup (compile time only)
; SGPRBlocks: 5
; VGPRBlocks: 2
; NumSGPRsForWavesPerEU: 48
; NumVGPRsForWavesPerEU: 20
; AccumOffset: 20
; Occupancy: 8
; WaveLimiterHint : 1
; COMPUTE_PGM_RSRC2:SCRATCH_EN: 0
; COMPUTE_PGM_RSRC2:USER_SGPR: 6
; COMPUTE_PGM_RSRC2:TRAP_HANDLER: 0
; COMPUTE_PGM_RSRC2:TGID_X_EN: 1
; COMPUTE_PGM_RSRC2:TGID_Y_EN: 1
; COMPUTE_PGM_RSRC2:TGID_Z_EN: 1
; COMPUTE_PGM_RSRC2:TIDIG_COMP_CNT: 0
; COMPUTE_PGM_RSRC3_GFX90A:ACCUM_OFFSET: 4
; COMPUTE_PGM_RSRC3_GFX90A:TG_SPLIT: 0
	.section	.text._ZL16k_get_rows_floatIf6__halfEvPKT_PKiPT0_ll15HIP_vector_typeIjLj3EEmmmmmmmmm,"axG",@progbits,_ZL16k_get_rows_floatIf6__halfEvPKT_PKiPT0_ll15HIP_vector_typeIjLj3EEmmmmmmmmm,comdat
	.globl	_ZL16k_get_rows_floatIf6__halfEvPKT_PKiPT0_ll15HIP_vector_typeIjLj3EEmmmmmmmmm ; -- Begin function _ZL16k_get_rows_floatIf6__halfEvPKT_PKiPT0_ll15HIP_vector_typeIjLj3EEmmmmmmmmm
	.p2align	8
	.type	_ZL16k_get_rows_floatIf6__halfEvPKT_PKiPT0_ll15HIP_vector_typeIjLj3EEmmmmmmmmm,@function
_ZL16k_get_rows_floatIf6__halfEvPKT_PKiPT0_ll15HIP_vector_typeIjLj3EEmmmmmmmmm: ; @_ZL16k_get_rows_floatIf6__halfEvPKT_PKiPT0_ll15HIP_vector_typeIjLj3EEmmmmmmmmm
; %bb.0:
	s_load_dwordx2 s[0:1], s[4:5], 0x20
	s_load_dwordx2 s[2:3], s[4:5], 0x2c
	s_mov_b32 s9, 0
	v_pk_mov_b32 v[2:3], s[8:9], s[8:9] op_sel:[0,1]
	s_waitcnt lgkmcnt(0)
	s_mul_i32 s1, s3, s1
	s_mul_hi_u32 s10, s3, s0
	s_add_i32 s31, s10, s1
	s_mul_i32 s30, s3, s0
	v_cmp_le_i64_e32 vcc, s[30:31], v[2:3]
	s_cbranch_vccnz .LBB21_6
; %bb.1:
	s_load_dwordx8 s[36:43], s[4:5], 0x0
	s_load_dwordx2 s[10:11], s[4:5], 0x78
	s_load_dwordx2 s[28:29], s[4:5], 0x88
	s_load_dword s33, s[4:5], 0x28
	s_load_dwordx16 s[12:27], s[4:5], 0x38
	s_add_u32 s4, s4, 0x80
	s_addc_u32 s5, s5, 0
	s_waitcnt lgkmcnt(0)
	s_and_b32 s29, s29, 0xffff
	s_mul_i32 s7, s7, s29
	v_add_u32_e32 v0, s7, v0
	s_ashr_i32 s7, s6, 31
	s_mul_i32 s25, s6, s25
	s_mul_hi_u32 s34, s6, s24
	s_add_i32 s25, s34, s25
	s_mul_i32 s34, s7, s24
	s_add_i32 s25, s25, s34
	s_mul_i32 s24, s6, s24
	s_lshl_b64 s[24:25], s[24:25], 2
	s_add_u32 s38, s38, s24
	s_mul_hi_u32 s24, s12, s6
	s_mul_i32 s7, s12, s7
	s_addc_u32 s39, s39, s25
	s_add_i32 s7, s24, s7
	s_mul_i32 s13, s13, s6
	s_add_i32 s7, s7, s13
	s_mul_i32 s6, s12, s6
	s_lshl_b64 s[6:7], s[6:7], 1
	v_mov_b32_e32 v1, 0
	s_add_u32 s6, s40, s6
	v_lshlrev_b64 v[2:3], 1, v[0:1]
	s_addc_u32 s7, s41, s7
	v_mov_b32_e32 v4, s7
	v_add_co_u32_e32 v10, vcc, s6, v2
	v_addc_co_u32_e32 v11, vcc, v4, v3, vcc
	v_lshlrev_b64 v[2:3], 2, v[0:1]
	v_mov_b32_e32 v4, s37
	v_add_co_u32_e32 v12, vcc, s36, v2
	v_cmp_gt_i64_e64 s[0:1], s[42:43], v[0:1]
	s_lshl_b64 s[6:7], s[14:15], 1
	s_lshl_b64 s[12:13], s[16:17], 1
	v_addc_co_u32_e32 v13, vcc, v4, v3, vcc
	v_pk_mov_b32 v[2:3], s[30:31], s[30:31] op_sel:[0,1]
	s_mov_b64 s[14:15], s[8:9]
	s_branch .LBB21_3
.LBB21_2:                               ;   in Loop: Header=BB21_3 Depth=1
	s_or_b64 exec, exec, s[16:17]
	s_add_u32 s14, s14, s28
	s_addc_u32 s15, s15, 0
	v_cmp_lt_i64_e32 vcc, s[14:15], v[2:3]
	s_cbranch_vccz .LBB21_6
.LBB21_3:                               ; =>This Loop Header: Depth=1
                                        ;     Child Loop BB21_5 Depth 2
	s_and_saveexec_b64 s[16:17], s[0:1]
	s_cbranch_execz .LBB21_2
; %bb.4:                                ;   in Loop: Header=BB21_3 Depth=1
	s_mul_hi_u32 s8, s14, s33
	s_add_i32 s8, s8, s14
	s_lshr_b32 s34, s8, s2
	s_mul_i32 s8, s34, s3
	s_sub_i32 s35, s14, s8
	s_ashr_i32 s36, s34, 31
	s_mul_i32 s8, s34, s27
	s_mul_hi_u32 s24, s34, s26
	s_add_i32 s8, s24, s8
	s_mul_i32 s24, s36, s26
	s_add_i32 s25, s8, s24
	s_ashr_i32 s37, s35, 31
	s_mul_i32 s8, s35, s11
	s_mul_hi_u32 s30, s35, s10
	s_mul_i32 s24, s34, s26
	s_add_i32 s8, s30, s8
	s_mul_i32 s30, s37, s10
	s_add_i32 s31, s8, s30
	s_lshl_b64 s[24:25], s[24:25], 2
	s_mul_i32 s30, s35, s10
	s_add_u32 s8, s38, s24
	s_addc_u32 s40, s39, s25
	s_lshl_b64 s[24:25], s[30:31], 2
	s_load_dword s31, s[4:5], 0x4
	s_add_u32 s24, s8, s24
	s_mul_i32 s8, s34, s21
	s_mul_hi_u32 s30, s34, s20
	s_addc_u32 s25, s40, s25
	s_add_i32 s8, s30, s8
	s_mul_i32 s30, s36, s20
	s_add_i32 s40, s8, s30
	s_waitcnt lgkmcnt(0)
	s_mul_i32 s8, s31, s29
	s_mul_i32 s30, s6, s36
	s_mul_hi_u32 s31, s6, s34
	s_add_i32 s30, s31, s30
	s_mul_i32 s31, s7, s34
	s_mul_i32 s41, s34, s20
	s_add_i32 s30, s30, s31
	s_mul_i32 s31, s6, s34
	s_mul_i32 s34, s12, s37
	s_mul_hi_u32 s36, s12, s35
	s_add_i32 s34, s36, s34
	s_mul_i32 s36, s13, s35
	s_add_i32 s34, s34, s36
	s_mul_i32 s36, s12, s35
	s_add_u32 s31, s31, s36
	s_addc_u32 s30, s30, s34
	s_mul_i32 s34, s22, s37
	s_mul_hi_u32 s36, s22, s35
	s_add_i32 s34, s36, s34
	s_mul_i32 s36, s23, s35
	v_mov_b32_e32 v5, s30
	v_add_co_u32_e32 v4, vcc, s31, v10
	s_lshl_b64 s[30:31], s[8:9], 1
	s_add_i32 s34, s34, s36
	s_mul_i32 s35, s22, s35
	s_add_u32 s35, s41, s35
	v_addc_co_u32_e32 v5, vcc, v11, v5, vcc
	s_addc_u32 s34, s40, s34
	v_mov_b32_e32 v7, s34
	v_add_co_u32_e32 v6, vcc, s35, v12
	s_lshl_b64 s[34:35], s[8:9], 2
	v_addc_co_u32_e32 v7, vcc, v13, v7, vcc
	s_mov_b64 s[36:37], 0
	v_mov_b32_e32 v14, s9
	v_mov_b32_e32 v15, s31
	;; [unrolled: 1-line block ×3, first 2 shown]
	v_pk_mov_b32 v[8:9], v[0:1], v[0:1] op_sel:[0,1]
.LBB21_5:                               ;   Parent Loop BB21_3 Depth=1
                                        ; =>  This Inner Loop Header: Depth=2
	global_load_dword v17, v1, s[24:25]
	v_add_co_u32_e32 v8, vcc, s8, v8
	v_addc_co_u32_e32 v9, vcc, v9, v14, vcc
	v_cmp_le_i64_e32 vcc, s[42:43], v[8:9]
	s_or_b64 s[36:37], vcc, s[36:37]
	s_waitcnt vmcnt(0)
	v_ashrrev_i32_e32 v20, 31, v17
	v_mul_lo_u32 v21, v17, s19
	v_mad_u64_u32 v[18:19], s[40:41], v17, s18, v[6:7]
	v_mul_lo_u32 v17, v20, s18
	v_add_u32_e32 v17, v21, v17
	v_add_u32_e32 v19, v17, v19
	global_load_dword v17, v[18:19], off
	v_add_co_u32_e32 v6, vcc, s34, v6
	v_addc_co_u32_e32 v7, vcc, v7, v16, vcc
	s_waitcnt vmcnt(0)
	v_cvt_f16_f32_e32 v17, v17
	global_store_short v[4:5], v17, off
	v_add_co_u32_e32 v4, vcc, s30, v4
	v_addc_co_u32_e32 v5, vcc, v5, v15, vcc
	s_andn2_b64 exec, exec, s[36:37]
	s_cbranch_execnz .LBB21_5
	s_branch .LBB21_2
.LBB21_6:
	s_endpgm
	.section	.rodata,"a",@progbits
	.p2align	6, 0x0
	.amdhsa_kernel _ZL16k_get_rows_floatIf6__halfEvPKT_PKiPT0_ll15HIP_vector_typeIjLj3EEmmmmmmmmm
		.amdhsa_group_segment_fixed_size 0
		.amdhsa_private_segment_fixed_size 0
		.amdhsa_kernarg_size 384
		.amdhsa_user_sgpr_count 6
		.amdhsa_user_sgpr_private_segment_buffer 1
		.amdhsa_user_sgpr_dispatch_ptr 0
		.amdhsa_user_sgpr_queue_ptr 0
		.amdhsa_user_sgpr_kernarg_segment_ptr 1
		.amdhsa_user_sgpr_dispatch_id 0
		.amdhsa_user_sgpr_flat_scratch_init 0
		.amdhsa_user_sgpr_kernarg_preload_length 0
		.amdhsa_user_sgpr_kernarg_preload_offset 0
		.amdhsa_user_sgpr_private_segment_size 0
		.amdhsa_uses_dynamic_stack 0
		.amdhsa_system_sgpr_private_segment_wavefront_offset 0
		.amdhsa_system_sgpr_workgroup_id_x 1
		.amdhsa_system_sgpr_workgroup_id_y 1
		.amdhsa_system_sgpr_workgroup_id_z 1
		.amdhsa_system_sgpr_workgroup_info 0
		.amdhsa_system_vgpr_workitem_id 0
		.amdhsa_next_free_vgpr 22
		.amdhsa_next_free_sgpr 44
		.amdhsa_accum_offset 24
		.amdhsa_reserve_vcc 1
		.amdhsa_reserve_flat_scratch 0
		.amdhsa_float_round_mode_32 0
		.amdhsa_float_round_mode_16_64 0
		.amdhsa_float_denorm_mode_32 3
		.amdhsa_float_denorm_mode_16_64 3
		.amdhsa_dx10_clamp 1
		.amdhsa_ieee_mode 1
		.amdhsa_fp16_overflow 0
		.amdhsa_tg_split 0
		.amdhsa_exception_fp_ieee_invalid_op 0
		.amdhsa_exception_fp_denorm_src 0
		.amdhsa_exception_fp_ieee_div_zero 0
		.amdhsa_exception_fp_ieee_overflow 0
		.amdhsa_exception_fp_ieee_underflow 0
		.amdhsa_exception_fp_ieee_inexact 0
		.amdhsa_exception_int_div_zero 0
	.end_amdhsa_kernel
	.section	.text._ZL16k_get_rows_floatIf6__halfEvPKT_PKiPT0_ll15HIP_vector_typeIjLj3EEmmmmmmmmm,"axG",@progbits,_ZL16k_get_rows_floatIf6__halfEvPKT_PKiPT0_ll15HIP_vector_typeIjLj3EEmmmmmmmmm,comdat
.Lfunc_end21:
	.size	_ZL16k_get_rows_floatIf6__halfEvPKT_PKiPT0_ll15HIP_vector_typeIjLj3EEmmmmmmmmm, .Lfunc_end21-_ZL16k_get_rows_floatIf6__halfEvPKT_PKiPT0_ll15HIP_vector_typeIjLj3EEmmmmmmmmm
                                        ; -- End function
	.section	.AMDGPU.csdata,"",@progbits
; Kernel info:
; codeLenInByte = 712
; NumSgprs: 48
; NumVgprs: 22
; NumAgprs: 0
; TotalNumVgprs: 22
; ScratchSize: 0
; MemoryBound: 0
; FloatMode: 240
; IeeeMode: 1
; LDSByteSize: 0 bytes/workgroup (compile time only)
; SGPRBlocks: 5
; VGPRBlocks: 2
; NumSGPRsForWavesPerEU: 48
; NumVGPRsForWavesPerEU: 22
; AccumOffset: 24
; Occupancy: 8
; WaveLimiterHint : 1
; COMPUTE_PGM_RSRC2:SCRATCH_EN: 0
; COMPUTE_PGM_RSRC2:USER_SGPR: 6
; COMPUTE_PGM_RSRC2:TRAP_HANDLER: 0
; COMPUTE_PGM_RSRC2:TGID_X_EN: 1
; COMPUTE_PGM_RSRC2:TGID_Y_EN: 1
; COMPUTE_PGM_RSRC2:TGID_Z_EN: 1
; COMPUTE_PGM_RSRC2:TIDIG_COMP_CNT: 0
; COMPUTE_PGM_RSRC3_GFX90A:ACCUM_OFFSET: 5
; COMPUTE_PGM_RSRC3_GFX90A:TG_SPLIT: 0
	.section	.text._ZL16k_get_rows_floatIi6__halfEvPKT_PKiPT0_ll15HIP_vector_typeIjLj3EEmmmmmmmmm,"axG",@progbits,_ZL16k_get_rows_floatIi6__halfEvPKT_PKiPT0_ll15HIP_vector_typeIjLj3EEmmmmmmmmm,comdat
	.globl	_ZL16k_get_rows_floatIi6__halfEvPKT_PKiPT0_ll15HIP_vector_typeIjLj3EEmmmmmmmmm ; -- Begin function _ZL16k_get_rows_floatIi6__halfEvPKT_PKiPT0_ll15HIP_vector_typeIjLj3EEmmmmmmmmm
	.p2align	8
	.type	_ZL16k_get_rows_floatIi6__halfEvPKT_PKiPT0_ll15HIP_vector_typeIjLj3EEmmmmmmmmm,@function
_ZL16k_get_rows_floatIi6__halfEvPKT_PKiPT0_ll15HIP_vector_typeIjLj3EEmmmmmmmmm: ; @_ZL16k_get_rows_floatIi6__halfEvPKT_PKiPT0_ll15HIP_vector_typeIjLj3EEmmmmmmmmm
; %bb.0:
	s_load_dwordx2 s[0:1], s[4:5], 0x20
	s_load_dwordx2 s[2:3], s[4:5], 0x2c
	s_mov_b32 s9, 0
	v_pk_mov_b32 v[2:3], s[8:9], s[8:9] op_sel:[0,1]
	s_waitcnt lgkmcnt(0)
	s_mul_i32 s1, s3, s1
	s_mul_hi_u32 s10, s3, s0
	s_add_i32 s31, s10, s1
	s_mul_i32 s30, s3, s0
	v_cmp_le_i64_e32 vcc, s[30:31], v[2:3]
	s_cbranch_vccnz .LBB22_6
; %bb.1:
	s_load_dwordx8 s[36:43], s[4:5], 0x0
	s_load_dwordx2 s[10:11], s[4:5], 0x78
	s_load_dwordx2 s[28:29], s[4:5], 0x88
	s_load_dword s33, s[4:5], 0x28
	s_load_dwordx16 s[12:27], s[4:5], 0x38
	s_add_u32 s4, s4, 0x80
	s_addc_u32 s5, s5, 0
	s_waitcnt lgkmcnt(0)
	s_and_b32 s29, s29, 0xffff
	s_mul_i32 s7, s7, s29
	v_add_u32_e32 v0, s7, v0
	s_ashr_i32 s7, s6, 31
	s_mul_i32 s25, s6, s25
	s_mul_hi_u32 s34, s6, s24
	s_add_i32 s25, s34, s25
	s_mul_i32 s34, s7, s24
	s_add_i32 s25, s25, s34
	s_mul_i32 s24, s6, s24
	s_lshl_b64 s[24:25], s[24:25], 2
	s_add_u32 s38, s38, s24
	s_mul_hi_u32 s24, s12, s6
	s_mul_i32 s7, s12, s7
	s_addc_u32 s39, s39, s25
	s_add_i32 s7, s24, s7
	s_mul_i32 s13, s13, s6
	s_add_i32 s7, s7, s13
	s_mul_i32 s6, s12, s6
	s_lshl_b64 s[6:7], s[6:7], 1
	v_mov_b32_e32 v1, 0
	s_add_u32 s6, s40, s6
	v_lshlrev_b64 v[2:3], 1, v[0:1]
	s_addc_u32 s7, s41, s7
	v_mov_b32_e32 v4, s7
	v_add_co_u32_e32 v10, vcc, s6, v2
	v_addc_co_u32_e32 v11, vcc, v4, v3, vcc
	v_lshlrev_b64 v[2:3], 2, v[0:1]
	v_mov_b32_e32 v4, s37
	v_add_co_u32_e32 v12, vcc, s36, v2
	v_cmp_gt_i64_e64 s[0:1], s[42:43], v[0:1]
	s_lshl_b64 s[6:7], s[14:15], 1
	s_lshl_b64 s[12:13], s[16:17], 1
	v_addc_co_u32_e32 v13, vcc, v4, v3, vcc
	v_pk_mov_b32 v[2:3], s[30:31], s[30:31] op_sel:[0,1]
	s_mov_b64 s[14:15], s[8:9]
	s_branch .LBB22_3
.LBB22_2:                               ;   in Loop: Header=BB22_3 Depth=1
	s_or_b64 exec, exec, s[16:17]
	s_add_u32 s14, s14, s28
	s_addc_u32 s15, s15, 0
	v_cmp_lt_i64_e32 vcc, s[14:15], v[2:3]
	s_cbranch_vccz .LBB22_6
.LBB22_3:                               ; =>This Loop Header: Depth=1
                                        ;     Child Loop BB22_5 Depth 2
	s_and_saveexec_b64 s[16:17], s[0:1]
	s_cbranch_execz .LBB22_2
; %bb.4:                                ;   in Loop: Header=BB22_3 Depth=1
	s_mul_hi_u32 s8, s14, s33
	s_add_i32 s8, s8, s14
	s_lshr_b32 s34, s8, s2
	s_mul_i32 s8, s34, s3
	s_sub_i32 s35, s14, s8
	s_ashr_i32 s36, s34, 31
	s_mul_i32 s8, s34, s27
	s_mul_hi_u32 s24, s34, s26
	s_add_i32 s8, s24, s8
	s_mul_i32 s24, s36, s26
	s_add_i32 s25, s8, s24
	s_ashr_i32 s37, s35, 31
	s_mul_i32 s8, s35, s11
	s_mul_hi_u32 s30, s35, s10
	s_mul_i32 s24, s34, s26
	s_add_i32 s8, s30, s8
	s_mul_i32 s30, s37, s10
	s_add_i32 s31, s8, s30
	s_lshl_b64 s[24:25], s[24:25], 2
	s_mul_i32 s30, s35, s10
	s_add_u32 s8, s38, s24
	s_addc_u32 s40, s39, s25
	s_lshl_b64 s[24:25], s[30:31], 2
	s_load_dword s31, s[4:5], 0x4
	s_add_u32 s24, s8, s24
	s_mul_i32 s8, s34, s21
	s_mul_hi_u32 s30, s34, s20
	s_addc_u32 s25, s40, s25
	s_add_i32 s8, s30, s8
	s_mul_i32 s30, s36, s20
	s_add_i32 s40, s8, s30
	s_waitcnt lgkmcnt(0)
	s_mul_i32 s8, s31, s29
	s_mul_i32 s30, s6, s36
	s_mul_hi_u32 s31, s6, s34
	s_add_i32 s30, s31, s30
	s_mul_i32 s31, s7, s34
	s_mul_i32 s41, s34, s20
	s_add_i32 s30, s30, s31
	s_mul_i32 s31, s6, s34
	s_mul_i32 s34, s12, s37
	s_mul_hi_u32 s36, s12, s35
	s_add_i32 s34, s36, s34
	s_mul_i32 s36, s13, s35
	s_add_i32 s34, s34, s36
	s_mul_i32 s36, s12, s35
	s_add_u32 s31, s31, s36
	s_addc_u32 s30, s30, s34
	s_mul_i32 s34, s22, s37
	s_mul_hi_u32 s36, s22, s35
	s_add_i32 s34, s36, s34
	s_mul_i32 s36, s23, s35
	v_mov_b32_e32 v5, s30
	v_add_co_u32_e32 v4, vcc, s31, v10
	s_lshl_b64 s[30:31], s[8:9], 1
	s_add_i32 s34, s34, s36
	s_mul_i32 s35, s22, s35
	s_add_u32 s35, s41, s35
	v_addc_co_u32_e32 v5, vcc, v11, v5, vcc
	s_addc_u32 s34, s40, s34
	v_mov_b32_e32 v7, s34
	v_add_co_u32_e32 v6, vcc, s35, v12
	s_lshl_b64 s[34:35], s[8:9], 2
	v_addc_co_u32_e32 v7, vcc, v13, v7, vcc
	s_mov_b64 s[36:37], 0
	v_mov_b32_e32 v14, s9
	v_mov_b32_e32 v15, s31
	;; [unrolled: 1-line block ×3, first 2 shown]
	v_pk_mov_b32 v[8:9], v[0:1], v[0:1] op_sel:[0,1]
.LBB22_5:                               ;   Parent Loop BB22_3 Depth=1
                                        ; =>  This Inner Loop Header: Depth=2
	global_load_dword v17, v1, s[24:25]
	v_add_co_u32_e32 v8, vcc, s8, v8
	v_addc_co_u32_e32 v9, vcc, v9, v14, vcc
	v_cmp_le_i64_e32 vcc, s[42:43], v[8:9]
	s_or_b64 s[36:37], vcc, s[36:37]
	s_waitcnt vmcnt(0)
	v_ashrrev_i32_e32 v20, 31, v17
	v_mul_lo_u32 v21, v17, s19
	v_mad_u64_u32 v[18:19], s[40:41], v17, s18, v[6:7]
	v_mul_lo_u32 v17, v20, s18
	v_add_u32_e32 v17, v21, v17
	v_add_u32_e32 v19, v17, v19
	global_load_dword v17, v[18:19], off
	v_add_co_u32_e32 v6, vcc, s34, v6
	v_addc_co_u32_e32 v7, vcc, v7, v16, vcc
	s_waitcnt vmcnt(0)
	v_cvt_f32_i32_e32 v17, v17
	v_cvt_f16_f32_e32 v17, v17
	global_store_short v[4:5], v17, off
	v_add_co_u32_e32 v4, vcc, s30, v4
	v_addc_co_u32_e32 v5, vcc, v5, v15, vcc
	s_andn2_b64 exec, exec, s[36:37]
	s_cbranch_execnz .LBB22_5
	s_branch .LBB22_2
.LBB22_6:
	s_endpgm
	.section	.rodata,"a",@progbits
	.p2align	6, 0x0
	.amdhsa_kernel _ZL16k_get_rows_floatIi6__halfEvPKT_PKiPT0_ll15HIP_vector_typeIjLj3EEmmmmmmmmm
		.amdhsa_group_segment_fixed_size 0
		.amdhsa_private_segment_fixed_size 0
		.amdhsa_kernarg_size 384
		.amdhsa_user_sgpr_count 6
		.amdhsa_user_sgpr_private_segment_buffer 1
		.amdhsa_user_sgpr_dispatch_ptr 0
		.amdhsa_user_sgpr_queue_ptr 0
		.amdhsa_user_sgpr_kernarg_segment_ptr 1
		.amdhsa_user_sgpr_dispatch_id 0
		.amdhsa_user_sgpr_flat_scratch_init 0
		.amdhsa_user_sgpr_kernarg_preload_length 0
		.amdhsa_user_sgpr_kernarg_preload_offset 0
		.amdhsa_user_sgpr_private_segment_size 0
		.amdhsa_uses_dynamic_stack 0
		.amdhsa_system_sgpr_private_segment_wavefront_offset 0
		.amdhsa_system_sgpr_workgroup_id_x 1
		.amdhsa_system_sgpr_workgroup_id_y 1
		.amdhsa_system_sgpr_workgroup_id_z 1
		.amdhsa_system_sgpr_workgroup_info 0
		.amdhsa_system_vgpr_workitem_id 0
		.amdhsa_next_free_vgpr 22
		.amdhsa_next_free_sgpr 44
		.amdhsa_accum_offset 24
		.amdhsa_reserve_vcc 1
		.amdhsa_reserve_flat_scratch 0
		.amdhsa_float_round_mode_32 0
		.amdhsa_float_round_mode_16_64 0
		.amdhsa_float_denorm_mode_32 3
		.amdhsa_float_denorm_mode_16_64 3
		.amdhsa_dx10_clamp 1
		.amdhsa_ieee_mode 1
		.amdhsa_fp16_overflow 0
		.amdhsa_tg_split 0
		.amdhsa_exception_fp_ieee_invalid_op 0
		.amdhsa_exception_fp_denorm_src 0
		.amdhsa_exception_fp_ieee_div_zero 0
		.amdhsa_exception_fp_ieee_overflow 0
		.amdhsa_exception_fp_ieee_underflow 0
		.amdhsa_exception_fp_ieee_inexact 0
		.amdhsa_exception_int_div_zero 0
	.end_amdhsa_kernel
	.section	.text._ZL16k_get_rows_floatIi6__halfEvPKT_PKiPT0_ll15HIP_vector_typeIjLj3EEmmmmmmmmm,"axG",@progbits,_ZL16k_get_rows_floatIi6__halfEvPKT_PKiPT0_ll15HIP_vector_typeIjLj3EEmmmmmmmmm,comdat
.Lfunc_end22:
	.size	_ZL16k_get_rows_floatIi6__halfEvPKT_PKiPT0_ll15HIP_vector_typeIjLj3EEmmmmmmmmm, .Lfunc_end22-_ZL16k_get_rows_floatIi6__halfEvPKT_PKiPT0_ll15HIP_vector_typeIjLj3EEmmmmmmmmm
                                        ; -- End function
	.section	.AMDGPU.csdata,"",@progbits
; Kernel info:
; codeLenInByte = 716
; NumSgprs: 48
; NumVgprs: 22
; NumAgprs: 0
; TotalNumVgprs: 22
; ScratchSize: 0
; MemoryBound: 0
; FloatMode: 240
; IeeeMode: 1
; LDSByteSize: 0 bytes/workgroup (compile time only)
; SGPRBlocks: 5
; VGPRBlocks: 2
; NumSGPRsForWavesPerEU: 48
; NumVGPRsForWavesPerEU: 22
; AccumOffset: 24
; Occupancy: 8
; WaveLimiterHint : 1
; COMPUTE_PGM_RSRC2:SCRATCH_EN: 0
; COMPUTE_PGM_RSRC2:USER_SGPR: 6
; COMPUTE_PGM_RSRC2:TRAP_HANDLER: 0
; COMPUTE_PGM_RSRC2:TGID_X_EN: 1
; COMPUTE_PGM_RSRC2:TGID_Y_EN: 1
; COMPUTE_PGM_RSRC2:TGID_Z_EN: 1
; COMPUTE_PGM_RSRC2:TIDIG_COMP_CNT: 0
; COMPUTE_PGM_RSRC3_GFX90A:ACCUM_OFFSET: 5
; COMPUTE_PGM_RSRC3_GFX90A:TG_SPLIT: 0
	.section	.text._ZL16k_get_rows_floatI14__hip_bfloat166__halfEvPKT_PKiPT0_ll15HIP_vector_typeIjLj3EEmmmmmmmmm,"axG",@progbits,_ZL16k_get_rows_floatI14__hip_bfloat166__halfEvPKT_PKiPT0_ll15HIP_vector_typeIjLj3EEmmmmmmmmm,comdat
	.globl	_ZL16k_get_rows_floatI14__hip_bfloat166__halfEvPKT_PKiPT0_ll15HIP_vector_typeIjLj3EEmmmmmmmmm ; -- Begin function _ZL16k_get_rows_floatI14__hip_bfloat166__halfEvPKT_PKiPT0_ll15HIP_vector_typeIjLj3EEmmmmmmmmm
	.p2align	8
	.type	_ZL16k_get_rows_floatI14__hip_bfloat166__halfEvPKT_PKiPT0_ll15HIP_vector_typeIjLj3EEmmmmmmmmm,@function
_ZL16k_get_rows_floatI14__hip_bfloat166__halfEvPKT_PKiPT0_ll15HIP_vector_typeIjLj3EEmmmmmmmmm: ; @_ZL16k_get_rows_floatI14__hip_bfloat166__halfEvPKT_PKiPT0_ll15HIP_vector_typeIjLj3EEmmmmmmmmm
; %bb.0:
	s_load_dwordx2 s[0:1], s[4:5], 0x20
	s_load_dwordx2 s[2:3], s[4:5], 0x2c
	s_mov_b32 s9, 0
	v_pk_mov_b32 v[2:3], s[8:9], s[8:9] op_sel:[0,1]
	s_waitcnt lgkmcnt(0)
	s_mul_i32 s1, s3, s1
	s_mul_hi_u32 s10, s3, s0
	s_add_i32 s31, s10, s1
	s_mul_i32 s30, s3, s0
	v_cmp_le_i64_e32 vcc, s[30:31], v[2:3]
	s_cbranch_vccnz .LBB23_6
; %bb.1:
	s_load_dwordx8 s[36:43], s[4:5], 0x0
	s_load_dwordx2 s[10:11], s[4:5], 0x78
	s_load_dwordx2 s[28:29], s[4:5], 0x88
	s_load_dword s33, s[4:5], 0x28
	s_load_dwordx16 s[12:27], s[4:5], 0x38
	s_add_u32 s4, s4, 0x80
	s_addc_u32 s5, s5, 0
	s_waitcnt lgkmcnt(0)
	s_and_b32 s29, s29, 0xffff
	s_mul_i32 s7, s7, s29
	v_add_u32_e32 v0, s7, v0
	s_ashr_i32 s7, s6, 31
	s_mul_i32 s25, s6, s25
	s_mul_hi_u32 s34, s6, s24
	s_add_i32 s25, s34, s25
	s_mul_i32 s34, s7, s24
	s_add_i32 s25, s25, s34
	s_mul_i32 s24, s6, s24
	s_lshl_b64 s[24:25], s[24:25], 2
	s_add_u32 s38, s38, s24
	s_mul_hi_u32 s24, s12, s6
	s_mul_i32 s7, s12, s7
	s_addc_u32 s39, s39, s25
	s_add_i32 s7, s24, s7
	s_mul_i32 s13, s13, s6
	s_add_i32 s7, s7, s13
	s_mul_i32 s6, s12, s6
	s_lshl_b64 s[6:7], s[6:7], 1
	v_mov_b32_e32 v1, 0
	s_add_u32 s6, s40, s6
	v_lshlrev_b64 v[2:3], 1, v[0:1]
	s_addc_u32 s7, s41, s7
	v_mov_b32_e32 v4, s7
	v_add_co_u32_e32 v6, vcc, s6, v2
	v_addc_co_u32_e32 v7, vcc, v4, v3, vcc
	v_mov_b32_e32 v4, s37
	v_add_co_u32_e32 v8, vcc, s36, v2
	v_cmp_gt_i64_e64 s[0:1], s[42:43], v[0:1]
	s_lshl_b64 s[6:7], s[14:15], 1
	s_lshl_b64 s[12:13], s[16:17], 1
	v_addc_co_u32_e32 v9, vcc, v4, v3, vcc
	v_pk_mov_b32 v[2:3], s[30:31], s[30:31] op_sel:[0,1]
	s_mov_b64 s[14:15], s[8:9]
	s_branch .LBB23_3
.LBB23_2:                               ;   in Loop: Header=BB23_3 Depth=1
	s_or_b64 exec, exec, s[16:17]
	s_add_u32 s14, s14, s28
	s_addc_u32 s15, s15, 0
	v_cmp_lt_i64_e32 vcc, s[14:15], v[2:3]
	s_cbranch_vccz .LBB23_6
.LBB23_3:                               ; =>This Loop Header: Depth=1
                                        ;     Child Loop BB23_5 Depth 2
	s_and_saveexec_b64 s[16:17], s[0:1]
	s_cbranch_execz .LBB23_2
; %bb.4:                                ;   in Loop: Header=BB23_3 Depth=1
	s_mul_hi_u32 s8, s14, s33
	s_add_i32 s8, s8, s14
	s_lshr_b32 s34, s8, s2
	s_mul_i32 s8, s34, s3
	s_sub_i32 s35, s14, s8
	s_ashr_i32 s36, s34, 31
	s_mul_i32 s8, s34, s27
	s_mul_hi_u32 s24, s34, s26
	s_add_i32 s8, s24, s8
	s_mul_i32 s24, s36, s26
	s_add_i32 s25, s8, s24
	s_ashr_i32 s37, s35, 31
	s_mul_i32 s8, s35, s11
	s_mul_hi_u32 s30, s35, s10
	s_mul_i32 s24, s34, s26
	s_add_i32 s8, s30, s8
	s_mul_i32 s30, s37, s10
	s_add_i32 s31, s8, s30
	s_lshl_b64 s[24:25], s[24:25], 2
	s_mul_i32 s30, s35, s10
	s_add_u32 s8, s38, s24
	s_addc_u32 s40, s39, s25
	s_lshl_b64 s[24:25], s[30:31], 2
	s_load_dword s31, s[4:5], 0x4
	s_add_u32 s24, s8, s24
	s_mul_i32 s8, s34, s21
	s_mul_hi_u32 s30, s34, s20
	s_addc_u32 s25, s40, s25
	s_add_i32 s8, s30, s8
	s_mul_i32 s30, s36, s20
	s_add_i32 s40, s8, s30
	s_waitcnt lgkmcnt(0)
	s_mul_i32 s8, s31, s29
	s_mul_i32 s30, s6, s36
	s_mul_hi_u32 s31, s6, s34
	s_add_i32 s30, s31, s30
	s_mul_i32 s31, s7, s34
	s_mul_i32 s41, s34, s20
	s_add_i32 s30, s30, s31
	s_mul_i32 s31, s6, s34
	s_mul_i32 s34, s12, s37
	s_mul_hi_u32 s36, s12, s35
	s_add_i32 s34, s36, s34
	s_mul_i32 s36, s13, s35
	s_add_i32 s34, s34, s36
	s_mul_i32 s36, s12, s35
	s_add_u32 s31, s31, s36
	s_addc_u32 s30, s30, s34
	s_mul_i32 s34, s22, s37
	s_mul_hi_u32 s36, s22, s35
	s_add_i32 s34, s36, s34
	s_mul_i32 s36, s23, s35
	v_mov_b32_e32 v4, s30
	v_add_co_u32_e32 v10, vcc, s31, v6
	s_lshl_b64 s[30:31], s[8:9], 1
	s_add_i32 s34, s34, s36
	s_mul_i32 s35, s22, s35
	s_add_u32 s35, s41, s35
	v_addc_co_u32_e32 v11, vcc, v7, v4, vcc
	s_addc_u32 s34, s40, s34
	v_mov_b32_e32 v4, s34
	v_add_co_u32_e32 v12, vcc, s35, v8
	v_addc_co_u32_e32 v13, vcc, v9, v4, vcc
	s_mov_b64 s[34:35], 0
	v_mov_b32_e32 v14, s9
	s_mov_b64 s[36:37], 0
	v_pk_mov_b32 v[4:5], v[0:1], v[0:1] op_sel:[0,1]
.LBB23_5:                               ;   Parent Loop BB23_3 Depth=1
                                        ; =>  This Inner Loop Header: Depth=2
	global_load_dword v15, v1, s[24:25]
	v_mov_b32_e32 v16, s37
	s_waitcnt vmcnt(0)
	v_ashrrev_i32_e32 v17, 31, v15
	v_mul_lo_u32 v18, v15, s19
	v_mul_hi_u32 v19, v15, s18
	v_mul_lo_u32 v15, v15, s18
	v_add_u32_e32 v18, v19, v18
	v_mul_lo_u32 v17, v17, s18
	v_add_u32_e32 v17, v18, v17
	v_add_co_u32_e32 v15, vcc, s36, v15
	v_addc_co_u32_e32 v17, vcc, v16, v17, vcc
	v_add_co_u32_e32 v16, vcc, v12, v15
	v_addc_co_u32_e32 v17, vcc, v13, v17, vcc
	global_load_ushort v15, v[16:17], off
	v_add_co_u32_e32 v4, vcc, s8, v4
	v_addc_co_u32_e32 v5, vcc, v5, v14, vcc
	v_mov_b32_e32 v17, s37
	v_add_co_u32_e32 v16, vcc, s36, v10
	v_addc_co_u32_e32 v17, vcc, v11, v17, vcc
	s_add_u32 s36, s36, s30
	v_cmp_le_i64_e32 vcc, s[42:43], v[4:5]
	s_addc_u32 s37, s37, s31
	s_or_b64 s[34:35], vcc, s[34:35]
	s_waitcnt vmcnt(0)
	v_lshlrev_b32_e32 v15, 16, v15
	v_cvt_f16_f32_e32 v15, v15
	global_store_short v[16:17], v15, off
	s_andn2_b64 exec, exec, s[34:35]
	s_cbranch_execnz .LBB23_5
	s_branch .LBB23_2
.LBB23_6:
	s_endpgm
	.section	.rodata,"a",@progbits
	.p2align	6, 0x0
	.amdhsa_kernel _ZL16k_get_rows_floatI14__hip_bfloat166__halfEvPKT_PKiPT0_ll15HIP_vector_typeIjLj3EEmmmmmmmmm
		.amdhsa_group_segment_fixed_size 0
		.amdhsa_private_segment_fixed_size 0
		.amdhsa_kernarg_size 384
		.amdhsa_user_sgpr_count 6
		.amdhsa_user_sgpr_private_segment_buffer 1
		.amdhsa_user_sgpr_dispatch_ptr 0
		.amdhsa_user_sgpr_queue_ptr 0
		.amdhsa_user_sgpr_kernarg_segment_ptr 1
		.amdhsa_user_sgpr_dispatch_id 0
		.amdhsa_user_sgpr_flat_scratch_init 0
		.amdhsa_user_sgpr_kernarg_preload_length 0
		.amdhsa_user_sgpr_kernarg_preload_offset 0
		.amdhsa_user_sgpr_private_segment_size 0
		.amdhsa_uses_dynamic_stack 0
		.amdhsa_system_sgpr_private_segment_wavefront_offset 0
		.amdhsa_system_sgpr_workgroup_id_x 1
		.amdhsa_system_sgpr_workgroup_id_y 1
		.amdhsa_system_sgpr_workgroup_id_z 1
		.amdhsa_system_sgpr_workgroup_info 0
		.amdhsa_system_vgpr_workitem_id 0
		.amdhsa_next_free_vgpr 20
		.amdhsa_next_free_sgpr 44
		.amdhsa_accum_offset 20
		.amdhsa_reserve_vcc 1
		.amdhsa_reserve_flat_scratch 0
		.amdhsa_float_round_mode_32 0
		.amdhsa_float_round_mode_16_64 0
		.amdhsa_float_denorm_mode_32 3
		.amdhsa_float_denorm_mode_16_64 3
		.amdhsa_dx10_clamp 1
		.amdhsa_ieee_mode 1
		.amdhsa_fp16_overflow 0
		.amdhsa_tg_split 0
		.amdhsa_exception_fp_ieee_invalid_op 0
		.amdhsa_exception_fp_denorm_src 0
		.amdhsa_exception_fp_ieee_div_zero 0
		.amdhsa_exception_fp_ieee_overflow 0
		.amdhsa_exception_fp_ieee_underflow 0
		.amdhsa_exception_fp_ieee_inexact 0
		.amdhsa_exception_int_div_zero 0
	.end_amdhsa_kernel
	.section	.text._ZL16k_get_rows_floatI14__hip_bfloat166__halfEvPKT_PKiPT0_ll15HIP_vector_typeIjLj3EEmmmmmmmmm,"axG",@progbits,_ZL16k_get_rows_floatI14__hip_bfloat166__halfEvPKT_PKiPT0_ll15HIP_vector_typeIjLj3EEmmmmmmmmm,comdat
.Lfunc_end23:
	.size	_ZL16k_get_rows_floatI14__hip_bfloat166__halfEvPKT_PKiPT0_ll15HIP_vector_typeIjLj3EEmmmmmmmmm, .Lfunc_end23-_ZL16k_get_rows_floatI14__hip_bfloat166__halfEvPKT_PKiPT0_ll15HIP_vector_typeIjLj3EEmmmmmmmmm
                                        ; -- End function
	.section	.AMDGPU.csdata,"",@progbits
; Kernel info:
; codeLenInByte = 732
; NumSgprs: 48
; NumVgprs: 20
; NumAgprs: 0
; TotalNumVgprs: 20
; ScratchSize: 0
; MemoryBound: 0
; FloatMode: 240
; IeeeMode: 1
; LDSByteSize: 0 bytes/workgroup (compile time only)
; SGPRBlocks: 5
; VGPRBlocks: 2
; NumSGPRsForWavesPerEU: 48
; NumVGPRsForWavesPerEU: 20
; AccumOffset: 20
; Occupancy: 8
; WaveLimiterHint : 1
; COMPUTE_PGM_RSRC2:SCRATCH_EN: 0
; COMPUTE_PGM_RSRC2:USER_SGPR: 6
; COMPUTE_PGM_RSRC2:TRAP_HANDLER: 0
; COMPUTE_PGM_RSRC2:TGID_X_EN: 1
; COMPUTE_PGM_RSRC2:TGID_Y_EN: 1
; COMPUTE_PGM_RSRC2:TGID_Z_EN: 1
; COMPUTE_PGM_RSRC2:TIDIG_COMP_CNT: 0
; COMPUTE_PGM_RSRC3_GFX90A:ACCUM_OFFSET: 4
; COMPUTE_PGM_RSRC3_GFX90A:TG_SPLIT: 0
	.section	.text._ZL10k_get_rowsILi128ELi1EXadL_ZL15dequantize_q1_0PKvliR15HIP_vector_typeIfLj2EEEE6__halfEvS1_PKiPT2_llS2_IjLj3EEmmmmmmmmm,"axG",@progbits,_ZL10k_get_rowsILi128ELi1EXadL_ZL15dequantize_q1_0PKvliR15HIP_vector_typeIfLj2EEEE6__halfEvS1_PKiPT2_llS2_IjLj3EEmmmmmmmmm,comdat
	.globl	_ZL10k_get_rowsILi128ELi1EXadL_ZL15dequantize_q1_0PKvliR15HIP_vector_typeIfLj2EEEE6__halfEvS1_PKiPT2_llS2_IjLj3EEmmmmmmmmm ; -- Begin function _ZL10k_get_rowsILi128ELi1EXadL_ZL15dequantize_q1_0PKvliR15HIP_vector_typeIfLj2EEEE6__halfEvS1_PKiPT2_llS2_IjLj3EEmmmmmmmmm
	.p2align	8
	.type	_ZL10k_get_rowsILi128ELi1EXadL_ZL15dequantize_q1_0PKvliR15HIP_vector_typeIfLj2EEEE6__halfEvS1_PKiPT2_llS2_IjLj3EEmmmmmmmmm,@function
_ZL10k_get_rowsILi128ELi1EXadL_ZL15dequantize_q1_0PKvliR15HIP_vector_typeIfLj2EEEE6__halfEvS1_PKiPT2_llS2_IjLj3EEmmmmmmmmm: ; @_ZL10k_get_rowsILi128ELi1EXadL_ZL15dequantize_q1_0PKvliR15HIP_vector_typeIfLj2EEEE6__halfEvS1_PKiPT2_llS2_IjLj3EEmmmmmmmmm
; %bb.0:
	s_load_dwordx4 s[28:31], s[4:5], 0x18
	s_load_dwordx2 s[2:3], s[4:5], 0x2c
	s_mov_b32 s9, 0
	v_pk_mov_b32 v[2:3], s[8:9], s[8:9] op_sel:[0,1]
	s_waitcnt lgkmcnt(0)
	s_mul_i32 s0, s3, s31
	s_mul_hi_u32 s1, s3, s30
	s_add_i32 s35, s1, s0
	s_mul_i32 s34, s3, s30
	v_cmp_le_i64_e32 vcc, s[34:35], v[2:3]
	s_cbranch_vccnz .LBB24_6
; %bb.1:
	s_load_dwordx4 s[36:39], s[4:5], 0x0
	s_load_dwordx2 s[42:43], s[4:5], 0x10
	s_load_dwordx2 s[10:11], s[4:5], 0x78
	;; [unrolled: 1-line block ×3, first 2 shown]
	s_load_dword s33, s[4:5], 0x28
	s_load_dwordx16 s[12:27], s[4:5], 0x38
	s_add_u32 s4, s4, 0x80
	s_addc_u32 s5, s5, 0
	s_waitcnt lgkmcnt(0)
	s_and_b32 s31, s31, 0xffff
	s_mul_i32 s7, s7, s31
	v_add_lshl_u32 v0, s7, v0, 1
	s_ashr_i32 s7, s6, 31
	s_mul_i32 s25, s6, s25
	s_mul_hi_u32 s40, s6, s24
	s_add_i32 s25, s40, s25
	s_mul_i32 s40, s7, s24
	s_add_i32 s25, s25, s40
	s_mul_i32 s24, s6, s24
	s_lshl_b64 s[24:25], s[24:25], 2
	s_add_u32 s40, s38, s24
	s_mul_i32 s13, s6, s13
	s_mul_hi_u32 s24, s6, s12
	s_addc_u32 s41, s39, s25
	s_add_i32 s13, s24, s13
	s_mul_i32 s7, s7, s12
	s_add_i32 s7, s13, s7
	s_mul_i32 s6, s6, s12
	s_lshl_b64 s[6:7], s[6:7], 1
	v_mov_b32_e32 v1, 0
	s_add_u32 s42, s42, s6
	v_cmp_gt_i64_e64 s[0:1], s[28:29], v[0:1]
	s_addc_u32 s43, s43, s7
	v_lshlrev_b64 v[2:3], 25, v[0:1]
	v_mov_b32_e32 v4, v1
	v_mov_b32_e32 v5, v0
	v_pk_mov_b32 v[6:7], s[34:35], s[34:35] op_sel:[0,1]
	s_mov_b64 s[6:7], s[8:9]
	s_branch .LBB24_3
.LBB24_2:                               ;   in Loop: Header=BB24_3 Depth=1
	s_or_b64 exec, exec, s[12:13]
	s_add_u32 s6, s6, s30
	s_addc_u32 s7, s7, 0
	v_cmp_ge_i64_e32 vcc, s[6:7], v[6:7]
	s_cbranch_vccnz .LBB24_6
.LBB24_3:                               ; =>This Loop Header: Depth=1
                                        ;     Child Loop BB24_5 Depth 2
	s_and_saveexec_b64 s[12:13], s[0:1]
	s_cbranch_execz .LBB24_2
; %bb.4:                                ;   in Loop: Header=BB24_3 Depth=1
	s_mul_hi_u32 s8, s6, s33
	s_add_i32 s8, s8, s6
	s_lshr_b32 s8, s8, s2
	s_mul_i32 s24, s8, s3
	s_sub_i32 s38, s6, s24
	s_ashr_i32 s39, s8, 31
	s_mul_i32 s24, s8, s27
	s_mul_hi_u32 s25, s8, s26
	s_add_i32 s24, s25, s24
	s_mul_i32 s25, s39, s26
	s_ashr_i32 s45, s38, 31
	s_mul_i32 s34, s38, s11
	s_mul_hi_u32 s35, s38, s10
	s_add_i32 s25, s24, s25
	s_mul_i32 s24, s8, s26
	s_add_i32 s34, s35, s34
	s_mul_i32 s35, s45, s10
	s_add_i32 s35, s34, s35
	s_lshl_b64 s[24:25], s[24:25], 2
	s_mul_i32 s34, s38, s10
	s_add_u32 s44, s40, s24
	s_addc_u32 s46, s41, s25
	s_lshl_b64 s[24:25], s[34:35], 2
	s_add_u32 s24, s44, s24
	s_addc_u32 s25, s46, s25
	s_load_dword s34, s[24:25], 0x0
	s_mul_i32 s24, s8, s15
	s_mul_hi_u32 s25, s8, s14
	s_add_i32 s24, s25, s24
	s_mul_i32 s25, s39, s14
	s_add_i32 s25, s24, s25
	s_mul_i32 s24, s8, s14
	s_waitcnt lgkmcnt(0)
	s_ashr_i32 s35, s34, 31
	s_lshl_b64 s[24:25], s[24:25], 1
	s_add_u32 s44, s42, s24
	s_addc_u32 s46, s43, s25
	s_mul_i32 s24, s38, s17
	s_mul_hi_u32 s25, s38, s16
	s_add_i32 s24, s25, s24
	s_mul_i32 s25, s45, s16
	s_add_i32 s25, s24, s25
	s_mul_i32 s24, s38, s16
	s_lshl_b64 s[24:25], s[24:25], 1
	s_add_u32 s44, s44, s24
	s_addc_u32 s46, s46, s25
	s_mul_i32 s24, s34, s19
	s_mul_hi_u32 s25, s34, s18
	s_add_i32 s24, s25, s24
	s_mul_i32 s35, s35, s18
	s_add_i32 s24, s24, s35
	s_mul_i32 s34, s34, s18
	s_add_u32 s25, s36, s34
	s_mul_i32 s34, s8, s21
	s_mul_hi_u32 s35, s8, s20
	s_addc_u32 s24, s37, s24
	s_add_i32 s34, s35, s34
	s_mul_i32 s39, s39, s20
	s_add_i32 s34, s34, s39
	s_mul_i32 s8, s8, s20
	s_add_u32 s8, s25, s8
	s_addc_u32 s25, s24, s34
	s_mul_i32 s24, s38, s23
	s_mul_hi_u32 s34, s38, s22
	s_add_i32 s24, s34, s24
	s_load_dword s34, s[4:5], 0x4
	s_mul_i32 s45, s45, s22
	s_add_i32 s35, s24, s45
	s_mul_i32 s38, s38, s22
	s_add_u32 s24, s8, s38
	s_waitcnt lgkmcnt(0)
	s_mul_i32 s8, s34, s31
	s_addc_u32 s25, s25, s35
	s_lshl_b64 s[34:35], s[8:9], 25
	s_mov_b64 s[38:39], 0
	v_mov_b32_e32 v14, s46
	v_mov_b32_e32 v15, s9
	;; [unrolled: 1-line block ×4, first 2 shown]
	v_pk_mov_b32 v[8:9], v[4:5], v[4:5] op_sel:[0,1]
	v_pk_mov_b32 v[10:11], v[2:3], v[2:3] op_sel:[0,1]
	;; [unrolled: 1-line block ×3, first 2 shown]
.LBB24_5:                               ;   Parent Loop BB24_3 Depth=1
                                        ; =>  This Inner Loop Header: Depth=2
	v_and_b32_e32 v20, 0x7f, v12
	v_mad_i64_i32 v[18:19], s[46:47], v11, 18, s[24:25]
	v_bfe_u32 v21, v12, 3, 4
	v_add_u32_e32 v22, 1, v20
	v_add_co_u32_e32 v20, vcc, v18, v21
	v_addc_co_u32_e32 v21, vcc, 0, v19, vcc
	v_lshrrev_b32_e32 v24, 3, v22
	global_load_ushort v23, v[18:19], off
	v_and_b32_e32 v22, 7, v22
	global_load_ubyte v20, v[20:21], off offset:2
	v_add_co_u32_e32 v18, vcc, v18, v24
	v_addc_co_u32_e32 v19, vcc, 0, v19, vcc
	global_load_ubyte v21, v[18:19], off offset:2
	v_and_b32_e32 v24, 7, v12
	v_add_co_u32_e32 v12, vcc, s8, v12
	v_addc_co_u32_e32 v13, vcc, v13, v15, vcc
	v_add_co_u32_e32 v10, vcc, s34, v10
	v_addc_co_u32_e32 v11, vcc, v11, v16, vcc
	v_ashrrev_i64 v[18:19], 31, v[8:9]
	v_add_co_u32_e32 v8, vcc, 0, v8
	v_addc_co_u32_e32 v9, vcc, v9, v17, vcc
	v_add_co_u32_e32 v18, vcc, s44, v18
	v_addc_co_u32_e32 v19, vcc, v14, v19, vcc
	v_cmp_le_i64_e32 vcc, s[28:29], v[12:13]
	s_or_b64 s[38:39], vcc, s[38:39]
	s_waitcnt vmcnt(1)
	v_lshrrev_b32_e32 v20, v24, v20
	v_lshlrev_b32_e32 v20, 1, v20
	v_and_b32_e32 v20, 2, v20
	v_add_u32_e32 v20, -1, v20
	v_cvt_f32_i32_e32 v20, v20
	s_waitcnt vmcnt(0)
	v_lshrrev_b32_e32 v21, v22, v21
	v_lshlrev_b32_e32 v21, 1, v21
	v_and_b32_e32 v21, 2, v21
	v_add_u32_e32 v21, -1, v21
	v_cvt_f32_i32_e32 v21, v21
	v_fma_mixlo_f16 v20, v23, v20, 0 op_sel_hi:[1,0,0]
	v_fma_mixhi_f16 v20, v23, v21, 0 op_sel_hi:[1,0,0]
	global_store_dword v[18:19], v20, off
	s_andn2_b64 exec, exec, s[38:39]
	s_cbranch_execnz .LBB24_5
	s_branch .LBB24_2
.LBB24_6:
	s_endpgm
	.section	.rodata,"a",@progbits
	.p2align	6, 0x0
	.amdhsa_kernel _ZL10k_get_rowsILi128ELi1EXadL_ZL15dequantize_q1_0PKvliR15HIP_vector_typeIfLj2EEEE6__halfEvS1_PKiPT2_llS2_IjLj3EEmmmmmmmmm
		.amdhsa_group_segment_fixed_size 0
		.amdhsa_private_segment_fixed_size 0
		.amdhsa_kernarg_size 384
		.amdhsa_user_sgpr_count 6
		.amdhsa_user_sgpr_private_segment_buffer 1
		.amdhsa_user_sgpr_dispatch_ptr 0
		.amdhsa_user_sgpr_queue_ptr 0
		.amdhsa_user_sgpr_kernarg_segment_ptr 1
		.amdhsa_user_sgpr_dispatch_id 0
		.amdhsa_user_sgpr_flat_scratch_init 0
		.amdhsa_user_sgpr_kernarg_preload_length 0
		.amdhsa_user_sgpr_kernarg_preload_offset 0
		.amdhsa_user_sgpr_private_segment_size 0
		.amdhsa_uses_dynamic_stack 0
		.amdhsa_system_sgpr_private_segment_wavefront_offset 0
		.amdhsa_system_sgpr_workgroup_id_x 1
		.amdhsa_system_sgpr_workgroup_id_y 1
		.amdhsa_system_sgpr_workgroup_id_z 1
		.amdhsa_system_sgpr_workgroup_info 0
		.amdhsa_system_vgpr_workitem_id 0
		.amdhsa_next_free_vgpr 25
		.amdhsa_next_free_sgpr 48
		.amdhsa_accum_offset 28
		.amdhsa_reserve_vcc 1
		.amdhsa_reserve_flat_scratch 0
		.amdhsa_float_round_mode_32 0
		.amdhsa_float_round_mode_16_64 0
		.amdhsa_float_denorm_mode_32 3
		.amdhsa_float_denorm_mode_16_64 3
		.amdhsa_dx10_clamp 1
		.amdhsa_ieee_mode 1
		.amdhsa_fp16_overflow 0
		.amdhsa_tg_split 0
		.amdhsa_exception_fp_ieee_invalid_op 0
		.amdhsa_exception_fp_denorm_src 0
		.amdhsa_exception_fp_ieee_div_zero 0
		.amdhsa_exception_fp_ieee_overflow 0
		.amdhsa_exception_fp_ieee_underflow 0
		.amdhsa_exception_fp_ieee_inexact 0
		.amdhsa_exception_int_div_zero 0
	.end_amdhsa_kernel
	.section	.text._ZL10k_get_rowsILi128ELi1EXadL_ZL15dequantize_q1_0PKvliR15HIP_vector_typeIfLj2EEEE6__halfEvS1_PKiPT2_llS2_IjLj3EEmmmmmmmmm,"axG",@progbits,_ZL10k_get_rowsILi128ELi1EXadL_ZL15dequantize_q1_0PKvliR15HIP_vector_typeIfLj2EEEE6__halfEvS1_PKiPT2_llS2_IjLj3EEmmmmmmmmm,comdat
.Lfunc_end24:
	.size	_ZL10k_get_rowsILi128ELi1EXadL_ZL15dequantize_q1_0PKvliR15HIP_vector_typeIfLj2EEEE6__halfEvS1_PKiPT2_llS2_IjLj3EEmmmmmmmmm, .Lfunc_end24-_ZL10k_get_rowsILi128ELi1EXadL_ZL15dequantize_q1_0PKvliR15HIP_vector_typeIfLj2EEEE6__halfEvS1_PKiPT2_llS2_IjLj3EEmmmmmmmmm
                                        ; -- End function
	.section	.AMDGPU.csdata,"",@progbits
; Kernel info:
; codeLenInByte = 852
; NumSgprs: 52
; NumVgprs: 25
; NumAgprs: 0
; TotalNumVgprs: 25
; ScratchSize: 0
; MemoryBound: 0
; FloatMode: 240
; IeeeMode: 1
; LDSByteSize: 0 bytes/workgroup (compile time only)
; SGPRBlocks: 6
; VGPRBlocks: 3
; NumSGPRsForWavesPerEU: 52
; NumVGPRsForWavesPerEU: 25
; AccumOffset: 28
; Occupancy: 8
; WaveLimiterHint : 1
; COMPUTE_PGM_RSRC2:SCRATCH_EN: 0
; COMPUTE_PGM_RSRC2:USER_SGPR: 6
; COMPUTE_PGM_RSRC2:TRAP_HANDLER: 0
; COMPUTE_PGM_RSRC2:TGID_X_EN: 1
; COMPUTE_PGM_RSRC2:TGID_Y_EN: 1
; COMPUTE_PGM_RSRC2:TGID_Z_EN: 1
; COMPUTE_PGM_RSRC2:TIDIG_COMP_CNT: 0
; COMPUTE_PGM_RSRC3_GFX90A:ACCUM_OFFSET: 6
; COMPUTE_PGM_RSRC3_GFX90A:TG_SPLIT: 0
	.section	.text._ZL10k_get_rowsILi32ELi2EXadL_ZL15dequantize_q4_0PKvliR15HIP_vector_typeIfLj2EEEE6__halfEvS1_PKiPT2_llS2_IjLj3EEmmmmmmmmm,"axG",@progbits,_ZL10k_get_rowsILi32ELi2EXadL_ZL15dequantize_q4_0PKvliR15HIP_vector_typeIfLj2EEEE6__halfEvS1_PKiPT2_llS2_IjLj3EEmmmmmmmmm,comdat
	.globl	_ZL10k_get_rowsILi32ELi2EXadL_ZL15dequantize_q4_0PKvliR15HIP_vector_typeIfLj2EEEE6__halfEvS1_PKiPT2_llS2_IjLj3EEmmmmmmmmm ; -- Begin function _ZL10k_get_rowsILi32ELi2EXadL_ZL15dequantize_q4_0PKvliR15HIP_vector_typeIfLj2EEEE6__halfEvS1_PKiPT2_llS2_IjLj3EEmmmmmmmmm
	.p2align	8
	.type	_ZL10k_get_rowsILi32ELi2EXadL_ZL15dequantize_q4_0PKvliR15HIP_vector_typeIfLj2EEEE6__halfEvS1_PKiPT2_llS2_IjLj3EEmmmmmmmmm,@function
_ZL10k_get_rowsILi32ELi2EXadL_ZL15dequantize_q4_0PKvliR15HIP_vector_typeIfLj2EEEE6__halfEvS1_PKiPT2_llS2_IjLj3EEmmmmmmmmm: ; @_ZL10k_get_rowsILi32ELi2EXadL_ZL15dequantize_q4_0PKvliR15HIP_vector_typeIfLj2EEEE6__halfEvS1_PKiPT2_llS2_IjLj3EEmmmmmmmmm
; %bb.0:
	s_load_dwordx4 s[28:31], s[4:5], 0x18
	s_load_dwordx2 s[2:3], s[4:5], 0x2c
	s_mov_b32 s9, 0
	v_pk_mov_b32 v[2:3], s[8:9], s[8:9] op_sel:[0,1]
	s_waitcnt lgkmcnt(0)
	s_mul_i32 s0, s3, s31
	s_mul_hi_u32 s1, s3, s30
	s_add_i32 s35, s1, s0
	s_mul_i32 s34, s3, s30
	v_cmp_le_i64_e32 vcc, s[34:35], v[2:3]
	s_cbranch_vccnz .LBB25_6
; %bb.1:
	s_load_dwordx4 s[36:39], s[4:5], 0x0
	s_load_dwordx2 s[42:43], s[4:5], 0x10
	s_load_dwordx2 s[10:11], s[4:5], 0x78
	;; [unrolled: 1-line block ×3, first 2 shown]
	s_load_dword s33, s[4:5], 0x28
	s_load_dwordx16 s[12:27], s[4:5], 0x38
	s_add_u32 s4, s4, 0x80
	s_addc_u32 s5, s5, 0
	s_waitcnt lgkmcnt(0)
	s_and_b32 s31, s31, 0xffff
	s_mul_i32 s7, s7, s31
	v_add_lshl_u32 v0, s7, v0, 1
	s_ashr_i32 s7, s6, 31
	s_mul_i32 s25, s6, s25
	s_mul_hi_u32 s40, s6, s24
	s_add_i32 s25, s40, s25
	s_mul_i32 s40, s7, s24
	s_add_i32 s25, s25, s40
	s_mul_i32 s24, s6, s24
	s_lshl_b64 s[24:25], s[24:25], 2
	s_add_u32 s40, s38, s24
	s_mul_i32 s13, s6, s13
	s_mul_hi_u32 s24, s6, s12
	s_addc_u32 s41, s39, s25
	s_add_i32 s13, s24, s13
	s_mul_i32 s7, s7, s12
	s_add_i32 s7, s13, s7
	s_mul_i32 s6, s6, s12
	s_lshl_b64 s[6:7], s[6:7], 1
	v_mov_b32_e32 v1, 0
	s_add_u32 s42, s42, s6
	v_cmp_gt_i64_e64 s[0:1], s[28:29], v[0:1]
	s_addc_u32 s43, s43, s7
	v_lshlrev_b64 v[2:3], 27, v[0:1]
	s_movk_i32 s44, 0xffe0
	v_pk_mov_b32 v[4:5], s[34:35], s[34:35] op_sel:[0,1]
	s_mov_b64 s[6:7], s[8:9]
	s_branch .LBB25_3
.LBB25_2:                               ;   in Loop: Header=BB25_3 Depth=1
	s_or_b64 exec, exec, s[12:13]
	s_add_u32 s6, s6, s30
	s_addc_u32 s7, s7, 0
	v_cmp_ge_i64_e32 vcc, s[6:7], v[4:5]
	s_cbranch_vccnz .LBB25_6
.LBB25_3:                               ; =>This Loop Header: Depth=1
                                        ;     Child Loop BB25_5 Depth 2
	s_and_saveexec_b64 s[12:13], s[0:1]
	s_cbranch_execz .LBB25_2
; %bb.4:                                ;   in Loop: Header=BB25_3 Depth=1
	s_mul_hi_u32 s8, s6, s33
	s_add_i32 s8, s8, s6
	s_lshr_b32 s8, s8, s2
	s_mul_i32 s24, s8, s3
	s_sub_i32 s38, s6, s24
	s_ashr_i32 s39, s8, 31
	s_mul_i32 s24, s8, s27
	s_mul_hi_u32 s25, s8, s26
	s_add_i32 s24, s25, s24
	s_mul_i32 s25, s39, s26
	s_ashr_i32 s46, s38, 31
	s_mul_i32 s34, s38, s11
	s_mul_hi_u32 s35, s38, s10
	s_add_i32 s25, s24, s25
	s_mul_i32 s24, s8, s26
	s_add_i32 s34, s35, s34
	s_mul_i32 s35, s46, s10
	s_add_i32 s35, s34, s35
	s_lshl_b64 s[24:25], s[24:25], 2
	s_mul_i32 s34, s38, s10
	s_add_u32 s45, s40, s24
	s_addc_u32 s47, s41, s25
	s_lshl_b64 s[24:25], s[34:35], 2
	s_add_u32 s24, s45, s24
	s_addc_u32 s25, s47, s25
	s_load_dword s34, s[24:25], 0x0
	s_mul_i32 s24, s8, s15
	s_mul_hi_u32 s25, s8, s14
	s_add_i32 s24, s25, s24
	s_mul_i32 s25, s39, s14
	s_add_i32 s25, s24, s25
	s_mul_i32 s24, s8, s14
	s_waitcnt lgkmcnt(0)
	s_ashr_i32 s35, s34, 31
	s_lshl_b64 s[24:25], s[24:25], 1
	s_add_u32 s45, s42, s24
	s_addc_u32 s47, s43, s25
	s_mul_i32 s24, s38, s17
	s_mul_hi_u32 s25, s38, s16
	s_add_i32 s24, s25, s24
	s_mul_i32 s25, s46, s16
	s_add_i32 s25, s24, s25
	s_mul_i32 s24, s38, s16
	s_lshl_b64 s[24:25], s[24:25], 1
	s_add_u32 s45, s45, s24
	s_addc_u32 s47, s47, s25
	s_mul_i32 s24, s34, s19
	s_mul_hi_u32 s25, s34, s18
	s_add_i32 s24, s25, s24
	s_mul_i32 s35, s35, s18
	s_add_i32 s24, s24, s35
	s_mul_i32 s34, s34, s18
	s_add_u32 s25, s36, s34
	s_mul_i32 s34, s8, s21
	s_mul_hi_u32 s35, s8, s20
	s_addc_u32 s24, s37, s24
	s_add_i32 s34, s35, s34
	s_mul_i32 s39, s39, s20
	s_add_i32 s34, s34, s39
	s_mul_i32 s8, s8, s20
	s_add_u32 s8, s25, s8
	s_addc_u32 s25, s24, s34
	s_mul_i32 s24, s38, s23
	s_mul_hi_u32 s34, s38, s22
	s_add_i32 s24, s34, s24
	s_load_dword s34, s[4:5], 0x4
	s_mul_i32 s46, s46, s22
	s_add_i32 s35, s24, s46
	s_mul_i32 s38, s38, s22
	s_add_u32 s24, s8, s38
	s_waitcnt lgkmcnt(0)
	s_mul_i32 s8, s34, s31
	s_addc_u32 s25, s25, s35
	s_lshl_b64 s[34:35], s[8:9], 27
	s_mov_b64 s[38:39], 0
	v_mov_b32_e32 v10, s47
	v_mov_b32_e32 v11, s9
	;; [unrolled: 1-line block ×3, first 2 shown]
	v_pk_mov_b32 v[6:7], v[2:3], v[2:3] op_sel:[0,1]
	v_pk_mov_b32 v[8:9], v[0:1], v[0:1] op_sel:[0,1]
.LBB25_5:                               ;   Parent Loop BB25_3 Depth=1
                                        ; =>  This Inner Loop Header: Depth=2
	v_bfe_u32 v13, v8, 1, 4
	v_mad_i64_i32 v[14:15], s[46:47], v7, 18, s[24:25]
	v_add_co_u32_e32 v16, vcc, v14, v13
	v_addc_co_u32_e32 v17, vcc, 0, v15, vcc
	global_load_ushort v18, v[14:15], off
	global_load_ubyte v19, v[16:17], off offset:2
	v_add_co_u32_e32 v6, vcc, s34, v6
	v_and_or_b32 v14, v8, s44, v13
	v_addc_co_u32_e32 v7, vcc, v7, v12, vcc
	v_add_co_u32_e32 v8, vcc, s8, v8
	v_addc_co_u32_e32 v9, vcc, v9, v11, vcc
	v_ashrrev_i32_e32 v15, 31, v14
	v_cmp_le_i64_e32 vcc, s[28:29], v[8:9]
	v_lshlrev_b64 v[14:15], 1, v[14:15]
	s_or_b64 s[38:39], vcc, s[38:39]
	v_add_co_u32_e32 v14, vcc, s45, v14
	v_addc_co_u32_e32 v15, vcc, v10, v15, vcc
	s_waitcnt vmcnt(0)
	v_and_b32_e32 v13, 15, v19
	v_lshrrev_b32_e32 v16, 4, v19
	v_add_u32_e32 v13, -8, v13
	v_add_u32_e32 v16, -8, v16
	v_cvt_f32_i32_e32 v13, v13
	v_cvt_f32_i32_e32 v16, v16
	v_fma_mixlo_f16 v13, v18, v13, 0 op_sel_hi:[1,0,0]
	v_fma_mixlo_f16 v16, v18, v16, 0 op_sel_hi:[1,0,0]
	global_store_short v[14:15], v13, off
	global_store_short v[14:15], v16, off offset:32
	s_andn2_b64 exec, exec, s[38:39]
	s_cbranch_execnz .LBB25_5
	s_branch .LBB25_2
.LBB25_6:
	s_endpgm
	.section	.rodata,"a",@progbits
	.p2align	6, 0x0
	.amdhsa_kernel _ZL10k_get_rowsILi32ELi2EXadL_ZL15dequantize_q4_0PKvliR15HIP_vector_typeIfLj2EEEE6__halfEvS1_PKiPT2_llS2_IjLj3EEmmmmmmmmm
		.amdhsa_group_segment_fixed_size 0
		.amdhsa_private_segment_fixed_size 0
		.amdhsa_kernarg_size 384
		.amdhsa_user_sgpr_count 6
		.amdhsa_user_sgpr_private_segment_buffer 1
		.amdhsa_user_sgpr_dispatch_ptr 0
		.amdhsa_user_sgpr_queue_ptr 0
		.amdhsa_user_sgpr_kernarg_segment_ptr 1
		.amdhsa_user_sgpr_dispatch_id 0
		.amdhsa_user_sgpr_flat_scratch_init 0
		.amdhsa_user_sgpr_kernarg_preload_length 0
		.amdhsa_user_sgpr_kernarg_preload_offset 0
		.amdhsa_user_sgpr_private_segment_size 0
		.amdhsa_uses_dynamic_stack 0
		.amdhsa_system_sgpr_private_segment_wavefront_offset 0
		.amdhsa_system_sgpr_workgroup_id_x 1
		.amdhsa_system_sgpr_workgroup_id_y 1
		.amdhsa_system_sgpr_workgroup_id_z 1
		.amdhsa_system_sgpr_workgroup_info 0
		.amdhsa_system_vgpr_workitem_id 0
		.amdhsa_next_free_vgpr 20
		.amdhsa_next_free_sgpr 48
		.amdhsa_accum_offset 20
		.amdhsa_reserve_vcc 1
		.amdhsa_reserve_flat_scratch 0
		.amdhsa_float_round_mode_32 0
		.amdhsa_float_round_mode_16_64 0
		.amdhsa_float_denorm_mode_32 3
		.amdhsa_float_denorm_mode_16_64 3
		.amdhsa_dx10_clamp 1
		.amdhsa_ieee_mode 1
		.amdhsa_fp16_overflow 0
		.amdhsa_tg_split 0
		.amdhsa_exception_fp_ieee_invalid_op 0
		.amdhsa_exception_fp_denorm_src 0
		.amdhsa_exception_fp_ieee_div_zero 0
		.amdhsa_exception_fp_ieee_overflow 0
		.amdhsa_exception_fp_ieee_underflow 0
		.amdhsa_exception_fp_ieee_inexact 0
		.amdhsa_exception_int_div_zero 0
	.end_amdhsa_kernel
	.section	.text._ZL10k_get_rowsILi32ELi2EXadL_ZL15dequantize_q4_0PKvliR15HIP_vector_typeIfLj2EEEE6__halfEvS1_PKiPT2_llS2_IjLj3EEmmmmmmmmm,"axG",@progbits,_ZL10k_get_rowsILi32ELi2EXadL_ZL15dequantize_q4_0PKvliR15HIP_vector_typeIfLj2EEEE6__halfEvS1_PKiPT2_llS2_IjLj3EEmmmmmmmmm,comdat
.Lfunc_end25:
	.size	_ZL10k_get_rowsILi32ELi2EXadL_ZL15dequantize_q4_0PKvliR15HIP_vector_typeIfLj2EEEE6__halfEvS1_PKiPT2_llS2_IjLj3EEmmmmmmmmm, .Lfunc_end25-_ZL10k_get_rowsILi32ELi2EXadL_ZL15dequantize_q4_0PKvliR15HIP_vector_typeIfLj2EEEE6__halfEvS1_PKiPT2_llS2_IjLj3EEmmmmmmmmm
                                        ; -- End function
	.section	.AMDGPU.csdata,"",@progbits
; Kernel info:
; codeLenInByte = 788
; NumSgprs: 52
; NumVgprs: 20
; NumAgprs: 0
; TotalNumVgprs: 20
; ScratchSize: 0
; MemoryBound: 0
; FloatMode: 240
; IeeeMode: 1
; LDSByteSize: 0 bytes/workgroup (compile time only)
; SGPRBlocks: 6
; VGPRBlocks: 2
; NumSGPRsForWavesPerEU: 52
; NumVGPRsForWavesPerEU: 20
; AccumOffset: 20
; Occupancy: 8
; WaveLimiterHint : 1
; COMPUTE_PGM_RSRC2:SCRATCH_EN: 0
; COMPUTE_PGM_RSRC2:USER_SGPR: 6
; COMPUTE_PGM_RSRC2:TRAP_HANDLER: 0
; COMPUTE_PGM_RSRC2:TGID_X_EN: 1
; COMPUTE_PGM_RSRC2:TGID_Y_EN: 1
; COMPUTE_PGM_RSRC2:TGID_Z_EN: 1
; COMPUTE_PGM_RSRC2:TIDIG_COMP_CNT: 0
; COMPUTE_PGM_RSRC3_GFX90A:ACCUM_OFFSET: 4
; COMPUTE_PGM_RSRC3_GFX90A:TG_SPLIT: 0
	.section	.text._ZL10k_get_rowsILi32ELi2EXadL_ZL15dequantize_q4_1PKvliR15HIP_vector_typeIfLj2EEEE6__halfEvS1_PKiPT2_llS2_IjLj3EEmmmmmmmmm,"axG",@progbits,_ZL10k_get_rowsILi32ELi2EXadL_ZL15dequantize_q4_1PKvliR15HIP_vector_typeIfLj2EEEE6__halfEvS1_PKiPT2_llS2_IjLj3EEmmmmmmmmm,comdat
	.globl	_ZL10k_get_rowsILi32ELi2EXadL_ZL15dequantize_q4_1PKvliR15HIP_vector_typeIfLj2EEEE6__halfEvS1_PKiPT2_llS2_IjLj3EEmmmmmmmmm ; -- Begin function _ZL10k_get_rowsILi32ELi2EXadL_ZL15dequantize_q4_1PKvliR15HIP_vector_typeIfLj2EEEE6__halfEvS1_PKiPT2_llS2_IjLj3EEmmmmmmmmm
	.p2align	8
	.type	_ZL10k_get_rowsILi32ELi2EXadL_ZL15dequantize_q4_1PKvliR15HIP_vector_typeIfLj2EEEE6__halfEvS1_PKiPT2_llS2_IjLj3EEmmmmmmmmm,@function
_ZL10k_get_rowsILi32ELi2EXadL_ZL15dequantize_q4_1PKvliR15HIP_vector_typeIfLj2EEEE6__halfEvS1_PKiPT2_llS2_IjLj3EEmmmmmmmmm: ; @_ZL10k_get_rowsILi32ELi2EXadL_ZL15dequantize_q4_1PKvliR15HIP_vector_typeIfLj2EEEE6__halfEvS1_PKiPT2_llS2_IjLj3EEmmmmmmmmm
; %bb.0:
	s_load_dwordx4 s[28:31], s[4:5], 0x18
	s_load_dwordx2 s[2:3], s[4:5], 0x2c
	s_mov_b32 s9, 0
	v_pk_mov_b32 v[2:3], s[8:9], s[8:9] op_sel:[0,1]
	s_waitcnt lgkmcnt(0)
	s_mul_i32 s0, s3, s31
	s_mul_hi_u32 s1, s3, s30
	s_add_i32 s35, s1, s0
	s_mul_i32 s34, s3, s30
	v_cmp_le_i64_e32 vcc, s[34:35], v[2:3]
	s_cbranch_vccnz .LBB26_6
; %bb.1:
	s_load_dwordx4 s[36:39], s[4:5], 0x0
	s_load_dwordx2 s[42:43], s[4:5], 0x10
	s_load_dwordx2 s[10:11], s[4:5], 0x78
	;; [unrolled: 1-line block ×3, first 2 shown]
	s_load_dword s33, s[4:5], 0x28
	s_load_dwordx16 s[12:27], s[4:5], 0x38
	s_add_u32 s4, s4, 0x80
	s_addc_u32 s5, s5, 0
	s_waitcnt lgkmcnt(0)
	s_and_b32 s31, s31, 0xffff
	s_mul_i32 s7, s7, s31
	v_add_lshl_u32 v0, s7, v0, 1
	s_ashr_i32 s7, s6, 31
	s_mul_i32 s25, s6, s25
	s_mul_hi_u32 s40, s6, s24
	s_add_i32 s25, s40, s25
	s_mul_i32 s40, s7, s24
	s_add_i32 s25, s25, s40
	s_mul_i32 s24, s6, s24
	s_lshl_b64 s[24:25], s[24:25], 2
	s_add_u32 s40, s38, s24
	s_mul_i32 s13, s6, s13
	s_mul_hi_u32 s24, s6, s12
	s_addc_u32 s41, s39, s25
	s_add_i32 s13, s24, s13
	s_mul_i32 s7, s7, s12
	s_add_i32 s7, s13, s7
	s_mul_i32 s6, s6, s12
	s_lshl_b64 s[6:7], s[6:7], 1
	v_mov_b32_e32 v1, 0
	s_add_u32 s42, s42, s6
	v_cmp_gt_i64_e64 s[0:1], s[28:29], v[0:1]
	s_addc_u32 s43, s43, s7
	v_lshlrev_b64 v[2:3], 27, v[0:1]
	s_movk_i32 s44, 0xffe0
	v_pk_mov_b32 v[4:5], s[34:35], s[34:35] op_sel:[0,1]
	s_mov_b64 s[6:7], s[8:9]
	s_branch .LBB26_3
.LBB26_2:                               ;   in Loop: Header=BB26_3 Depth=1
	s_or_b64 exec, exec, s[12:13]
	s_add_u32 s6, s6, s30
	s_addc_u32 s7, s7, 0
	v_cmp_ge_i64_e32 vcc, s[6:7], v[4:5]
	s_cbranch_vccnz .LBB26_6
.LBB26_3:                               ; =>This Loop Header: Depth=1
                                        ;     Child Loop BB26_5 Depth 2
	s_and_saveexec_b64 s[12:13], s[0:1]
	s_cbranch_execz .LBB26_2
; %bb.4:                                ;   in Loop: Header=BB26_3 Depth=1
	s_mul_hi_u32 s8, s6, s33
	s_add_i32 s8, s8, s6
	s_lshr_b32 s8, s8, s2
	s_mul_i32 s24, s8, s3
	s_sub_i32 s38, s6, s24
	s_ashr_i32 s39, s8, 31
	s_mul_i32 s24, s8, s27
	s_mul_hi_u32 s25, s8, s26
	s_add_i32 s24, s25, s24
	s_mul_i32 s25, s39, s26
	s_ashr_i32 s46, s38, 31
	s_mul_i32 s34, s38, s11
	s_mul_hi_u32 s35, s38, s10
	s_add_i32 s25, s24, s25
	s_mul_i32 s24, s8, s26
	s_add_i32 s34, s35, s34
	s_mul_i32 s35, s46, s10
	s_add_i32 s35, s34, s35
	s_lshl_b64 s[24:25], s[24:25], 2
	s_mul_i32 s34, s38, s10
	s_add_u32 s45, s40, s24
	s_addc_u32 s47, s41, s25
	s_lshl_b64 s[24:25], s[34:35], 2
	s_add_u32 s24, s45, s24
	s_addc_u32 s25, s47, s25
	s_load_dword s34, s[24:25], 0x0
	s_mul_i32 s24, s8, s15
	s_mul_hi_u32 s25, s8, s14
	s_add_i32 s24, s25, s24
	s_mul_i32 s25, s39, s14
	s_add_i32 s25, s24, s25
	s_mul_i32 s24, s8, s14
	s_waitcnt lgkmcnt(0)
	s_ashr_i32 s35, s34, 31
	s_lshl_b64 s[24:25], s[24:25], 1
	s_add_u32 s45, s42, s24
	s_addc_u32 s47, s43, s25
	s_mul_i32 s24, s38, s17
	s_mul_hi_u32 s25, s38, s16
	s_add_i32 s24, s25, s24
	s_mul_i32 s25, s46, s16
	s_add_i32 s25, s24, s25
	s_mul_i32 s24, s38, s16
	s_lshl_b64 s[24:25], s[24:25], 1
	s_add_u32 s45, s45, s24
	s_addc_u32 s47, s47, s25
	s_mul_i32 s24, s34, s19
	s_mul_hi_u32 s25, s34, s18
	s_add_i32 s24, s25, s24
	s_mul_i32 s35, s35, s18
	s_add_i32 s24, s24, s35
	s_mul_i32 s34, s34, s18
	s_add_u32 s25, s36, s34
	s_mul_i32 s34, s8, s21
	s_mul_hi_u32 s35, s8, s20
	s_addc_u32 s24, s37, s24
	s_add_i32 s34, s35, s34
	s_mul_i32 s39, s39, s20
	s_add_i32 s34, s34, s39
	s_mul_i32 s8, s8, s20
	s_add_u32 s8, s25, s8
	s_addc_u32 s25, s24, s34
	s_mul_i32 s24, s38, s23
	s_mul_hi_u32 s34, s38, s22
	s_add_i32 s24, s34, s24
	s_load_dword s34, s[4:5], 0x4
	s_mul_i32 s46, s46, s22
	s_add_i32 s35, s24, s46
	s_mul_i32 s38, s38, s22
	s_add_u32 s24, s8, s38
	s_waitcnt lgkmcnt(0)
	s_mul_i32 s8, s34, s31
	s_addc_u32 s25, s25, s35
	s_lshl_b64 s[34:35], s[8:9], 27
	s_mov_b64 s[38:39], 0
	v_mov_b32_e32 v10, s47
	v_mov_b32_e32 v11, s9
	;; [unrolled: 1-line block ×3, first 2 shown]
	v_pk_mov_b32 v[6:7], v[2:3], v[2:3] op_sel:[0,1]
	v_pk_mov_b32 v[8:9], v[0:1], v[0:1] op_sel:[0,1]
.LBB26_5:                               ;   Parent Loop BB26_3 Depth=1
                                        ; =>  This Inner Loop Header: Depth=2
	v_bfe_u32 v13, v8, 1, 4
	v_mad_i64_i32 v[14:15], s[46:47], v7, 20, s[24:25]
	v_add_co_u32_e32 v16, vcc, v14, v13
	v_addc_co_u32_e32 v17, vcc, 0, v15, vcc
	global_load_dword v18, v[14:15], off
	global_load_ubyte v19, v[16:17], off offset:4
	v_add_co_u32_e32 v6, vcc, s34, v6
	v_addc_co_u32_e32 v7, vcc, v7, v12, vcc
	v_and_or_b32 v14, v8, s44, v13
	v_add_co_u32_e32 v8, vcc, s8, v8
	v_addc_co_u32_e32 v9, vcc, v9, v11, vcc
	v_ashrrev_i32_e32 v15, 31, v14
	v_cmp_le_i64_e32 vcc, s[28:29], v[8:9]
	v_lshlrev_b64 v[14:15], 1, v[14:15]
	s_or_b64 s[38:39], vcc, s[38:39]
	v_add_co_u32_e32 v14, vcc, s45, v14
	v_addc_co_u32_e32 v15, vcc, v10, v15, vcc
	s_waitcnt vmcnt(0)
	v_and_b32_e32 v13, 15, v19
	v_lshrrev_b32_e32 v16, 4, v19
	v_cvt_f32_ubyte0_e32 v13, v13
	v_cvt_f32_ubyte0_e32 v16, v16
	v_fma_mixlo_f16 v13, v18, v13, v18 op_sel:[0,0,1] op_sel_hi:[1,0,1]
	v_fma_mixlo_f16 v16, v18, v16, v18 op_sel:[0,0,1] op_sel_hi:[1,0,1]
	global_store_short v[14:15], v13, off
	global_store_short v[14:15], v16, off offset:32
	s_andn2_b64 exec, exec, s[38:39]
	s_cbranch_execnz .LBB26_5
	s_branch .LBB26_2
.LBB26_6:
	s_endpgm
	.section	.rodata,"a",@progbits
	.p2align	6, 0x0
	.amdhsa_kernel _ZL10k_get_rowsILi32ELi2EXadL_ZL15dequantize_q4_1PKvliR15HIP_vector_typeIfLj2EEEE6__halfEvS1_PKiPT2_llS2_IjLj3EEmmmmmmmmm
		.amdhsa_group_segment_fixed_size 0
		.amdhsa_private_segment_fixed_size 0
		.amdhsa_kernarg_size 384
		.amdhsa_user_sgpr_count 6
		.amdhsa_user_sgpr_private_segment_buffer 1
		.amdhsa_user_sgpr_dispatch_ptr 0
		.amdhsa_user_sgpr_queue_ptr 0
		.amdhsa_user_sgpr_kernarg_segment_ptr 1
		.amdhsa_user_sgpr_dispatch_id 0
		.amdhsa_user_sgpr_flat_scratch_init 0
		.amdhsa_user_sgpr_kernarg_preload_length 0
		.amdhsa_user_sgpr_kernarg_preload_offset 0
		.amdhsa_user_sgpr_private_segment_size 0
		.amdhsa_uses_dynamic_stack 0
		.amdhsa_system_sgpr_private_segment_wavefront_offset 0
		.amdhsa_system_sgpr_workgroup_id_x 1
		.amdhsa_system_sgpr_workgroup_id_y 1
		.amdhsa_system_sgpr_workgroup_id_z 1
		.amdhsa_system_sgpr_workgroup_info 0
		.amdhsa_system_vgpr_workitem_id 0
		.amdhsa_next_free_vgpr 20
		.amdhsa_next_free_sgpr 48
		.amdhsa_accum_offset 20
		.amdhsa_reserve_vcc 1
		.amdhsa_reserve_flat_scratch 0
		.amdhsa_float_round_mode_32 0
		.amdhsa_float_round_mode_16_64 0
		.amdhsa_float_denorm_mode_32 3
		.amdhsa_float_denorm_mode_16_64 3
		.amdhsa_dx10_clamp 1
		.amdhsa_ieee_mode 1
		.amdhsa_fp16_overflow 0
		.amdhsa_tg_split 0
		.amdhsa_exception_fp_ieee_invalid_op 0
		.amdhsa_exception_fp_denorm_src 0
		.amdhsa_exception_fp_ieee_div_zero 0
		.amdhsa_exception_fp_ieee_overflow 0
		.amdhsa_exception_fp_ieee_underflow 0
		.amdhsa_exception_fp_ieee_inexact 0
		.amdhsa_exception_int_div_zero 0
	.end_amdhsa_kernel
	.section	.text._ZL10k_get_rowsILi32ELi2EXadL_ZL15dequantize_q4_1PKvliR15HIP_vector_typeIfLj2EEEE6__halfEvS1_PKiPT2_llS2_IjLj3EEmmmmmmmmm,"axG",@progbits,_ZL10k_get_rowsILi32ELi2EXadL_ZL15dequantize_q4_1PKvliR15HIP_vector_typeIfLj2EEEE6__halfEvS1_PKiPT2_llS2_IjLj3EEmmmmmmmmm,comdat
.Lfunc_end26:
	.size	_ZL10k_get_rowsILi32ELi2EXadL_ZL15dequantize_q4_1PKvliR15HIP_vector_typeIfLj2EEEE6__halfEvS1_PKiPT2_llS2_IjLj3EEmmmmmmmmm, .Lfunc_end26-_ZL10k_get_rowsILi32ELi2EXadL_ZL15dequantize_q4_1PKvliR15HIP_vector_typeIfLj2EEEE6__halfEvS1_PKiPT2_llS2_IjLj3EEmmmmmmmmm
                                        ; -- End function
	.section	.AMDGPU.csdata,"",@progbits
; Kernel info:
; codeLenInByte = 780
; NumSgprs: 52
; NumVgprs: 20
; NumAgprs: 0
; TotalNumVgprs: 20
; ScratchSize: 0
; MemoryBound: 0
; FloatMode: 240
; IeeeMode: 1
; LDSByteSize: 0 bytes/workgroup (compile time only)
; SGPRBlocks: 6
; VGPRBlocks: 2
; NumSGPRsForWavesPerEU: 52
; NumVGPRsForWavesPerEU: 20
; AccumOffset: 20
; Occupancy: 8
; WaveLimiterHint : 1
; COMPUTE_PGM_RSRC2:SCRATCH_EN: 0
; COMPUTE_PGM_RSRC2:USER_SGPR: 6
; COMPUTE_PGM_RSRC2:TRAP_HANDLER: 0
; COMPUTE_PGM_RSRC2:TGID_X_EN: 1
; COMPUTE_PGM_RSRC2:TGID_Y_EN: 1
; COMPUTE_PGM_RSRC2:TGID_Z_EN: 1
; COMPUTE_PGM_RSRC2:TIDIG_COMP_CNT: 0
; COMPUTE_PGM_RSRC3_GFX90A:ACCUM_OFFSET: 4
; COMPUTE_PGM_RSRC3_GFX90A:TG_SPLIT: 0
	.section	.text._ZL10k_get_rowsILi32ELi2EXadL_ZL15dequantize_q5_0PKvliR15HIP_vector_typeIfLj2EEEE6__halfEvS1_PKiPT2_llS2_IjLj3EEmmmmmmmmm,"axG",@progbits,_ZL10k_get_rowsILi32ELi2EXadL_ZL15dequantize_q5_0PKvliR15HIP_vector_typeIfLj2EEEE6__halfEvS1_PKiPT2_llS2_IjLj3EEmmmmmmmmm,comdat
	.globl	_ZL10k_get_rowsILi32ELi2EXadL_ZL15dequantize_q5_0PKvliR15HIP_vector_typeIfLj2EEEE6__halfEvS1_PKiPT2_llS2_IjLj3EEmmmmmmmmm ; -- Begin function _ZL10k_get_rowsILi32ELi2EXadL_ZL15dequantize_q5_0PKvliR15HIP_vector_typeIfLj2EEEE6__halfEvS1_PKiPT2_llS2_IjLj3EEmmmmmmmmm
	.p2align	8
	.type	_ZL10k_get_rowsILi32ELi2EXadL_ZL15dequantize_q5_0PKvliR15HIP_vector_typeIfLj2EEEE6__halfEvS1_PKiPT2_llS2_IjLj3EEmmmmmmmmm,@function
_ZL10k_get_rowsILi32ELi2EXadL_ZL15dequantize_q5_0PKvliR15HIP_vector_typeIfLj2EEEE6__halfEvS1_PKiPT2_llS2_IjLj3EEmmmmmmmmm: ; @_ZL10k_get_rowsILi32ELi2EXadL_ZL15dequantize_q5_0PKvliR15HIP_vector_typeIfLj2EEEE6__halfEvS1_PKiPT2_llS2_IjLj3EEmmmmmmmmm
; %bb.0:
	s_load_dwordx4 s[28:31], s[4:5], 0x18
	s_load_dwordx2 s[2:3], s[4:5], 0x2c
	s_mov_b32 s9, 0
	v_pk_mov_b32 v[2:3], s[8:9], s[8:9] op_sel:[0,1]
	s_waitcnt lgkmcnt(0)
	s_mul_i32 s0, s3, s31
	s_mul_hi_u32 s1, s3, s30
	s_add_i32 s35, s1, s0
	s_mul_i32 s34, s3, s30
	v_cmp_le_i64_e32 vcc, s[34:35], v[2:3]
	s_cbranch_vccnz .LBB27_6
; %bb.1:
	s_load_dwordx4 s[36:39], s[4:5], 0x0
	s_load_dwordx2 s[42:43], s[4:5], 0x10
	s_load_dwordx2 s[10:11], s[4:5], 0x78
	;; [unrolled: 1-line block ×3, first 2 shown]
	s_load_dword s33, s[4:5], 0x28
	s_load_dwordx16 s[12:27], s[4:5], 0x38
	s_add_u32 s4, s4, 0x80
	s_addc_u32 s5, s5, 0
	s_waitcnt lgkmcnt(0)
	s_and_b32 s31, s31, 0xffff
	s_mul_i32 s7, s7, s31
	v_add_lshl_u32 v0, s7, v0, 1
	s_ashr_i32 s7, s6, 31
	s_mul_i32 s25, s6, s25
	s_mul_hi_u32 s40, s6, s24
	s_add_i32 s25, s40, s25
	s_mul_i32 s40, s7, s24
	s_add_i32 s25, s25, s40
	s_mul_i32 s24, s6, s24
	s_lshl_b64 s[24:25], s[24:25], 2
	s_add_u32 s40, s38, s24
	s_mul_i32 s13, s6, s13
	s_mul_hi_u32 s24, s6, s12
	s_addc_u32 s41, s39, s25
	s_add_i32 s13, s24, s13
	s_mul_i32 s7, s7, s12
	s_add_i32 s7, s13, s7
	s_mul_i32 s6, s6, s12
	s_lshl_b64 s[6:7], s[6:7], 1
	v_mov_b32_e32 v1, 0
	s_add_u32 s42, s42, s6
	v_cmp_gt_i64_e64 s[0:1], s[28:29], v[0:1]
	s_addc_u32 s43, s43, s7
	v_lshlrev_b64 v[2:3], 27, v[0:1]
	s_mov_b32 s44, 0x1000706
	s_movk_i32 s45, 0xffe0
	v_pk_mov_b32 v[4:5], s[34:35], s[34:35] op_sel:[0,1]
	s_mov_b64 s[6:7], s[8:9]
	s_branch .LBB27_3
.LBB27_2:                               ;   in Loop: Header=BB27_3 Depth=1
	s_or_b64 exec, exec, s[12:13]
	s_add_u32 s6, s6, s30
	s_addc_u32 s7, s7, 0
	v_cmp_ge_i64_e32 vcc, s[6:7], v[4:5]
	s_cbranch_vccnz .LBB27_6
.LBB27_3:                               ; =>This Loop Header: Depth=1
                                        ;     Child Loop BB27_5 Depth 2
	s_and_saveexec_b64 s[12:13], s[0:1]
	s_cbranch_execz .LBB27_2
; %bb.4:                                ;   in Loop: Header=BB27_3 Depth=1
	s_mul_hi_u32 s8, s6, s33
	s_add_i32 s8, s8, s6
	s_lshr_b32 s8, s8, s2
	s_mul_i32 s24, s8, s3
	s_sub_i32 s38, s6, s24
	s_ashr_i32 s39, s8, 31
	s_mul_i32 s24, s8, s27
	s_mul_hi_u32 s25, s8, s26
	s_add_i32 s24, s25, s24
	s_mul_i32 s25, s39, s26
	s_ashr_i32 s47, s38, 31
	s_mul_i32 s34, s38, s11
	s_mul_hi_u32 s35, s38, s10
	s_add_i32 s25, s24, s25
	s_mul_i32 s24, s8, s26
	s_add_i32 s34, s35, s34
	s_mul_i32 s35, s47, s10
	s_add_i32 s35, s34, s35
	s_lshl_b64 s[24:25], s[24:25], 2
	s_mul_i32 s34, s38, s10
	s_add_u32 s46, s40, s24
	s_addc_u32 s48, s41, s25
	s_lshl_b64 s[24:25], s[34:35], 2
	s_add_u32 s24, s46, s24
	s_addc_u32 s25, s48, s25
	s_load_dword s34, s[24:25], 0x0
	s_mul_i32 s24, s8, s15
	s_mul_hi_u32 s25, s8, s14
	s_add_i32 s24, s25, s24
	s_mul_i32 s25, s39, s14
	s_add_i32 s25, s24, s25
	s_mul_i32 s24, s8, s14
	s_waitcnt lgkmcnt(0)
	s_ashr_i32 s35, s34, 31
	s_lshl_b64 s[24:25], s[24:25], 1
	s_add_u32 s46, s42, s24
	s_addc_u32 s48, s43, s25
	s_mul_i32 s24, s38, s17
	s_mul_hi_u32 s25, s38, s16
	s_add_i32 s24, s25, s24
	s_mul_i32 s25, s47, s16
	s_add_i32 s25, s24, s25
	s_mul_i32 s24, s38, s16
	s_lshl_b64 s[24:25], s[24:25], 1
	s_add_u32 s46, s46, s24
	s_addc_u32 s48, s48, s25
	s_mul_i32 s24, s34, s19
	s_mul_hi_u32 s25, s34, s18
	s_add_i32 s24, s25, s24
	s_mul_i32 s35, s35, s18
	s_add_i32 s24, s24, s35
	s_mul_i32 s34, s34, s18
	s_add_u32 s25, s36, s34
	s_mul_i32 s34, s8, s21
	s_mul_hi_u32 s35, s8, s20
	s_addc_u32 s24, s37, s24
	s_add_i32 s34, s35, s34
	s_mul_i32 s39, s39, s20
	s_add_i32 s34, s34, s39
	s_mul_i32 s8, s8, s20
	s_add_u32 s8, s25, s8
	s_addc_u32 s25, s24, s34
	s_mul_i32 s24, s38, s23
	s_mul_hi_u32 s34, s38, s22
	s_add_i32 s24, s34, s24
	s_load_dword s34, s[4:5], 0x4
	s_mul_i32 s47, s47, s22
	s_add_i32 s35, s24, s47
	s_mul_i32 s38, s38, s22
	s_add_u32 s24, s8, s38
	s_waitcnt lgkmcnt(0)
	s_mul_i32 s8, s34, s31
	s_addc_u32 s25, s25, s35
	s_lshl_b64 s[34:35], s[8:9], 27
	s_mov_b64 s[38:39], 0
	v_mov_b32_e32 v10, s48
	v_mov_b32_e32 v11, s9
	;; [unrolled: 1-line block ×3, first 2 shown]
	v_pk_mov_b32 v[6:7], v[2:3], v[2:3] op_sel:[0,1]
	v_pk_mov_b32 v[8:9], v[0:1], v[0:1] op_sel:[0,1]
.LBB27_5:                               ;   Parent Loop BB27_3 Depth=1
                                        ; =>  This Inner Loop Header: Depth=2
	v_bfe_u32 v13, v8, 1, 4
	v_mad_i64_i32 v[14:15], s[48:49], v7, 22, s[24:25]
	global_load_dword v16, v[14:15], off
	global_load_ushort v17, v[14:15], off offset:4
	v_add_co_u32_e32 v14, vcc, v14, v13
	v_addc_co_u32_e32 v15, vcc, 0, v15, vcc
	global_load_ubyte v18, v[14:15], off offset:6
	v_add_u32_e32 v19, 12, v13
	v_and_or_b32 v14, v8, s45, v13
	v_add_co_u32_e32 v6, vcc, s34, v6
	v_addc_co_u32_e32 v7, vcc, v7, v12, vcc
	v_add_co_u32_e32 v8, vcc, s8, v8
	v_addc_co_u32_e32 v9, vcc, v9, v11, vcc
	v_ashrrev_i32_e32 v15, 31, v14
	v_cmp_le_i64_e32 vcc, s[28:29], v[8:9]
	v_lshlrev_b64 v[14:15], 1, v[14:15]
	s_or_b64 s[38:39], vcc, s[38:39]
	v_add_co_u32_e32 v14, vcc, s46, v14
	v_addc_co_u32_e32 v15, vcc, v10, v15, vcc
	s_waitcnt vmcnt(1)
	v_perm_b32 v17, v16, v17, s44
	v_lshrrev_b32_e32 v13, v13, v17
	v_lshrrev_b32_e32 v17, v19, v17
	v_lshlrev_b32_e32 v13, 4, v13
	v_and_b32_e32 v17, 16, v17
	s_waitcnt vmcnt(0)
	v_lshrrev_b16_e32 v19, 4, v18
	v_or_b32_e32 v19, -16, v19
	v_or_b32_e32 v18, -16, v18
	v_and_b32_e32 v13, 16, v13
	v_add_u32_sdwa v17, v17, sext(v19) dst_sel:DWORD dst_unused:UNUSED_PAD src0_sel:DWORD src1_sel:WORD_0
	v_add_u32_e32 v13, v18, v13
	v_cvt_f32_i32_e32 v17, v17
	v_cvt_f32_i32_e32 v13, v13
	v_fma_mixlo_f16 v17, v16, v17, 0 op_sel_hi:[1,0,0]
	v_fma_mixlo_f16 v13, v16, v13, 0 op_sel_hi:[1,0,0]
	global_store_short v[14:15], v17, off offset:32
	global_store_short v[14:15], v13, off
	s_andn2_b64 exec, exec, s[38:39]
	s_cbranch_execnz .LBB27_5
	s_branch .LBB27_2
.LBB27_6:
	s_endpgm
	.section	.rodata,"a",@progbits
	.p2align	6, 0x0
	.amdhsa_kernel _ZL10k_get_rowsILi32ELi2EXadL_ZL15dequantize_q5_0PKvliR15HIP_vector_typeIfLj2EEEE6__halfEvS1_PKiPT2_llS2_IjLj3EEmmmmmmmmm
		.amdhsa_group_segment_fixed_size 0
		.amdhsa_private_segment_fixed_size 0
		.amdhsa_kernarg_size 384
		.amdhsa_user_sgpr_count 6
		.amdhsa_user_sgpr_private_segment_buffer 1
		.amdhsa_user_sgpr_dispatch_ptr 0
		.amdhsa_user_sgpr_queue_ptr 0
		.amdhsa_user_sgpr_kernarg_segment_ptr 1
		.amdhsa_user_sgpr_dispatch_id 0
		.amdhsa_user_sgpr_flat_scratch_init 0
		.amdhsa_user_sgpr_kernarg_preload_length 0
		.amdhsa_user_sgpr_kernarg_preload_offset 0
		.amdhsa_user_sgpr_private_segment_size 0
		.amdhsa_uses_dynamic_stack 0
		.amdhsa_system_sgpr_private_segment_wavefront_offset 0
		.amdhsa_system_sgpr_workgroup_id_x 1
		.amdhsa_system_sgpr_workgroup_id_y 1
		.amdhsa_system_sgpr_workgroup_id_z 1
		.amdhsa_system_sgpr_workgroup_info 0
		.amdhsa_system_vgpr_workitem_id 0
		.amdhsa_next_free_vgpr 20
		.amdhsa_next_free_sgpr 50
		.amdhsa_accum_offset 20
		.amdhsa_reserve_vcc 1
		.amdhsa_reserve_flat_scratch 0
		.amdhsa_float_round_mode_32 0
		.amdhsa_float_round_mode_16_64 0
		.amdhsa_float_denorm_mode_32 3
		.amdhsa_float_denorm_mode_16_64 3
		.amdhsa_dx10_clamp 1
		.amdhsa_ieee_mode 1
		.amdhsa_fp16_overflow 0
		.amdhsa_tg_split 0
		.amdhsa_exception_fp_ieee_invalid_op 0
		.amdhsa_exception_fp_denorm_src 0
		.amdhsa_exception_fp_ieee_div_zero 0
		.amdhsa_exception_fp_ieee_overflow 0
		.amdhsa_exception_fp_ieee_underflow 0
		.amdhsa_exception_fp_ieee_inexact 0
		.amdhsa_exception_int_div_zero 0
	.end_amdhsa_kernel
	.section	.text._ZL10k_get_rowsILi32ELi2EXadL_ZL15dequantize_q5_0PKvliR15HIP_vector_typeIfLj2EEEE6__halfEvS1_PKiPT2_llS2_IjLj3EEmmmmmmmmm,"axG",@progbits,_ZL10k_get_rowsILi32ELi2EXadL_ZL15dequantize_q5_0PKvliR15HIP_vector_typeIfLj2EEEE6__halfEvS1_PKiPT2_llS2_IjLj3EEmmmmmmmmm,comdat
.Lfunc_end27:
	.size	_ZL10k_get_rowsILi32ELi2EXadL_ZL15dequantize_q5_0PKvliR15HIP_vector_typeIfLj2EEEE6__halfEvS1_PKiPT2_llS2_IjLj3EEmmmmmmmmm, .Lfunc_end27-_ZL10k_get_rowsILi32ELi2EXadL_ZL15dequantize_q5_0PKvliR15HIP_vector_typeIfLj2EEEE6__halfEvS1_PKiPT2_llS2_IjLj3EEmmmmmmmmm
                                        ; -- End function
	.section	.AMDGPU.csdata,"",@progbits
; Kernel info:
; codeLenInByte = 848
; NumSgprs: 54
; NumVgprs: 20
; NumAgprs: 0
; TotalNumVgprs: 20
; ScratchSize: 0
; MemoryBound: 0
; FloatMode: 240
; IeeeMode: 1
; LDSByteSize: 0 bytes/workgroup (compile time only)
; SGPRBlocks: 6
; VGPRBlocks: 2
; NumSGPRsForWavesPerEU: 54
; NumVGPRsForWavesPerEU: 20
; AccumOffset: 20
; Occupancy: 8
; WaveLimiterHint : 1
; COMPUTE_PGM_RSRC2:SCRATCH_EN: 0
; COMPUTE_PGM_RSRC2:USER_SGPR: 6
; COMPUTE_PGM_RSRC2:TRAP_HANDLER: 0
; COMPUTE_PGM_RSRC2:TGID_X_EN: 1
; COMPUTE_PGM_RSRC2:TGID_Y_EN: 1
; COMPUTE_PGM_RSRC2:TGID_Z_EN: 1
; COMPUTE_PGM_RSRC2:TIDIG_COMP_CNT: 0
; COMPUTE_PGM_RSRC3_GFX90A:ACCUM_OFFSET: 4
; COMPUTE_PGM_RSRC3_GFX90A:TG_SPLIT: 0
	.section	.text._ZL10k_get_rowsILi32ELi2EXadL_ZL15dequantize_q5_1PKvliR15HIP_vector_typeIfLj2EEEE6__halfEvS1_PKiPT2_llS2_IjLj3EEmmmmmmmmm,"axG",@progbits,_ZL10k_get_rowsILi32ELi2EXadL_ZL15dequantize_q5_1PKvliR15HIP_vector_typeIfLj2EEEE6__halfEvS1_PKiPT2_llS2_IjLj3EEmmmmmmmmm,comdat
	.globl	_ZL10k_get_rowsILi32ELi2EXadL_ZL15dequantize_q5_1PKvliR15HIP_vector_typeIfLj2EEEE6__halfEvS1_PKiPT2_llS2_IjLj3EEmmmmmmmmm ; -- Begin function _ZL10k_get_rowsILi32ELi2EXadL_ZL15dequantize_q5_1PKvliR15HIP_vector_typeIfLj2EEEE6__halfEvS1_PKiPT2_llS2_IjLj3EEmmmmmmmmm
	.p2align	8
	.type	_ZL10k_get_rowsILi32ELi2EXadL_ZL15dequantize_q5_1PKvliR15HIP_vector_typeIfLj2EEEE6__halfEvS1_PKiPT2_llS2_IjLj3EEmmmmmmmmm,@function
_ZL10k_get_rowsILi32ELi2EXadL_ZL15dequantize_q5_1PKvliR15HIP_vector_typeIfLj2EEEE6__halfEvS1_PKiPT2_llS2_IjLj3EEmmmmmmmmm: ; @_ZL10k_get_rowsILi32ELi2EXadL_ZL15dequantize_q5_1PKvliR15HIP_vector_typeIfLj2EEEE6__halfEvS1_PKiPT2_llS2_IjLj3EEmmmmmmmmm
; %bb.0:
	s_load_dwordx4 s[28:31], s[4:5], 0x18
	s_load_dwordx2 s[2:3], s[4:5], 0x2c
	s_mov_b32 s9, 0
	v_pk_mov_b32 v[2:3], s[8:9], s[8:9] op_sel:[0,1]
	s_waitcnt lgkmcnt(0)
	s_mul_i32 s0, s3, s31
	s_mul_hi_u32 s1, s3, s30
	s_add_i32 s35, s1, s0
	s_mul_i32 s34, s3, s30
	v_cmp_le_i64_e32 vcc, s[34:35], v[2:3]
	s_cbranch_vccnz .LBB28_6
; %bb.1:
	s_load_dwordx4 s[36:39], s[4:5], 0x0
	s_load_dwordx2 s[42:43], s[4:5], 0x10
	s_load_dwordx2 s[10:11], s[4:5], 0x78
	;; [unrolled: 1-line block ×3, first 2 shown]
	s_load_dword s33, s[4:5], 0x28
	s_load_dwordx16 s[12:27], s[4:5], 0x38
	s_add_u32 s4, s4, 0x80
	s_addc_u32 s5, s5, 0
	s_waitcnt lgkmcnt(0)
	s_and_b32 s31, s31, 0xffff
	s_mul_i32 s7, s7, s31
	v_add_lshl_u32 v0, s7, v0, 1
	s_ashr_i32 s7, s6, 31
	s_mul_i32 s25, s6, s25
	s_mul_hi_u32 s40, s6, s24
	s_add_i32 s25, s40, s25
	s_mul_i32 s40, s7, s24
	s_add_i32 s25, s25, s40
	s_mul_i32 s24, s6, s24
	s_lshl_b64 s[24:25], s[24:25], 2
	s_add_u32 s40, s38, s24
	s_mul_i32 s13, s6, s13
	s_mul_hi_u32 s24, s6, s12
	s_addc_u32 s41, s39, s25
	s_add_i32 s13, s24, s13
	s_mul_i32 s7, s7, s12
	s_add_i32 s7, s13, s7
	s_mul_i32 s6, s6, s12
	s_lshl_b64 s[6:7], s[6:7], 1
	v_mov_b32_e32 v1, 0
	s_add_u32 s42, s42, s6
	v_cmp_gt_i64_e64 s[0:1], s[28:29], v[0:1]
	s_addc_u32 s43, s43, s7
	v_lshlrev_b64 v[2:3], 27, v[0:1]
	s_movk_i32 s44, 0xffe0
	v_pk_mov_b32 v[4:5], s[34:35], s[34:35] op_sel:[0,1]
	s_mov_b64 s[6:7], s[8:9]
	s_branch .LBB28_3
.LBB28_2:                               ;   in Loop: Header=BB28_3 Depth=1
	s_or_b64 exec, exec, s[12:13]
	s_add_u32 s6, s6, s30
	s_addc_u32 s7, s7, 0
	v_cmp_ge_i64_e32 vcc, s[6:7], v[4:5]
	s_cbranch_vccnz .LBB28_6
.LBB28_3:                               ; =>This Loop Header: Depth=1
                                        ;     Child Loop BB28_5 Depth 2
	s_and_saveexec_b64 s[12:13], s[0:1]
	s_cbranch_execz .LBB28_2
; %bb.4:                                ;   in Loop: Header=BB28_3 Depth=1
	s_mul_hi_u32 s8, s6, s33
	s_add_i32 s8, s8, s6
	s_lshr_b32 s8, s8, s2
	s_mul_i32 s24, s8, s3
	s_sub_i32 s38, s6, s24
	s_ashr_i32 s39, s8, 31
	s_mul_i32 s24, s8, s27
	s_mul_hi_u32 s25, s8, s26
	s_add_i32 s24, s25, s24
	s_mul_i32 s25, s39, s26
	s_ashr_i32 s46, s38, 31
	s_mul_i32 s34, s38, s11
	s_mul_hi_u32 s35, s38, s10
	s_add_i32 s25, s24, s25
	s_mul_i32 s24, s8, s26
	s_add_i32 s34, s35, s34
	s_mul_i32 s35, s46, s10
	s_add_i32 s35, s34, s35
	s_lshl_b64 s[24:25], s[24:25], 2
	s_mul_i32 s34, s38, s10
	s_add_u32 s45, s40, s24
	s_addc_u32 s47, s41, s25
	s_lshl_b64 s[24:25], s[34:35], 2
	s_add_u32 s24, s45, s24
	s_addc_u32 s25, s47, s25
	s_load_dword s34, s[24:25], 0x0
	s_mul_i32 s24, s8, s15
	s_mul_hi_u32 s25, s8, s14
	s_add_i32 s24, s25, s24
	s_mul_i32 s25, s39, s14
	s_add_i32 s25, s24, s25
	s_mul_i32 s24, s8, s14
	s_waitcnt lgkmcnt(0)
	s_ashr_i32 s35, s34, 31
	s_lshl_b64 s[24:25], s[24:25], 1
	s_add_u32 s45, s42, s24
	s_addc_u32 s47, s43, s25
	s_mul_i32 s24, s38, s17
	s_mul_hi_u32 s25, s38, s16
	s_add_i32 s24, s25, s24
	s_mul_i32 s25, s46, s16
	s_add_i32 s25, s24, s25
	s_mul_i32 s24, s38, s16
	s_lshl_b64 s[24:25], s[24:25], 1
	s_add_u32 s45, s45, s24
	s_addc_u32 s47, s47, s25
	s_mul_i32 s24, s34, s19
	s_mul_hi_u32 s25, s34, s18
	s_add_i32 s24, s25, s24
	s_mul_i32 s35, s35, s18
	s_add_i32 s24, s24, s35
	s_mul_i32 s34, s34, s18
	s_add_u32 s25, s36, s34
	s_mul_i32 s34, s8, s21
	s_mul_hi_u32 s35, s8, s20
	s_addc_u32 s24, s37, s24
	s_add_i32 s34, s35, s34
	s_mul_i32 s39, s39, s20
	s_add_i32 s34, s34, s39
	s_mul_i32 s8, s8, s20
	s_add_u32 s8, s25, s8
	s_addc_u32 s25, s24, s34
	s_mul_i32 s24, s38, s23
	s_mul_hi_u32 s34, s38, s22
	s_add_i32 s24, s34, s24
	s_load_dword s34, s[4:5], 0x4
	s_mul_i32 s46, s46, s22
	s_add_i32 s35, s24, s46
	s_mul_i32 s38, s38, s22
	s_add_u32 s24, s8, s38
	s_waitcnt lgkmcnt(0)
	s_mul_i32 s8, s34, s31
	s_addc_u32 s25, s25, s35
	s_lshl_b64 s[34:35], s[8:9], 27
	s_mov_b64 s[38:39], 0
	v_mov_b32_e32 v10, s47
	v_mov_b32_e32 v11, s9
	;; [unrolled: 1-line block ×3, first 2 shown]
	v_pk_mov_b32 v[6:7], v[2:3], v[2:3] op_sel:[0,1]
	v_pk_mov_b32 v[8:9], v[0:1], v[0:1] op_sel:[0,1]
.LBB28_5:                               ;   Parent Loop BB28_3 Depth=1
                                        ; =>  This Inner Loop Header: Depth=2
	v_mad_i64_i32 v[14:15], s[46:47], v7, 24, s[24:25]
	v_bfe_u32 v13, v8, 1, 4
	global_load_dword v16, v[14:15], off
	global_load_ushort v17, v[14:15], off offset:4
	global_load_ushort v18, v[14:15], off offset:6
	v_add_co_u32_e32 v14, vcc, v14, v13
	v_addc_co_u32_e32 v15, vcc, 0, v15, vcc
	global_load_ubyte v19, v[14:15], off offset:8
	v_add_co_u32_e32 v6, vcc, s34, v6
	v_addc_co_u32_e32 v7, vcc, v7, v12, vcc
	v_add_u32_e32 v20, 12, v13
	v_and_or_b32 v14, v8, s44, v13
	v_add_co_u32_e32 v8, vcc, s8, v8
	v_addc_co_u32_e32 v9, vcc, v9, v11, vcc
	v_ashrrev_i32_e32 v15, 31, v14
	v_cmp_le_i64_e32 vcc, s[28:29], v[8:9]
	v_lshlrev_b64 v[14:15], 1, v[14:15]
	s_or_b64 s[38:39], vcc, s[38:39]
	v_add_co_u32_e32 v14, vcc, s45, v14
	v_addc_co_u32_e32 v15, vcc, v10, v15, vcc
	s_waitcnt vmcnt(1)
	v_lshrrev_b16_e32 v21, 8, v18
	v_and_b32_e32 v18, 0xff, v18
	v_lshlrev_b32_e32 v21, 24, v21
	v_lshlrev_b32_e32 v18, 16, v18
	v_or3_b32 v17, v18, v17, v21
	s_waitcnt vmcnt(0)
	v_and_b32_e32 v22, 15, v19
	v_lshrrev_b16_e32 v19, 4, v19
	v_lshrrev_b32_e32 v13, v13, v17
	v_lshrrev_b32_e32 v17, v20, v17
	v_lshlrev_b32_e32 v13, 4, v13
	v_and_or_b32 v17, v17, 16, v19
	v_and_or_b32 v13, v13, 16, v22
	v_cvt_f32_ubyte0_e32 v17, v17
	v_cvt_f32_ubyte0_e32 v13, v13
	v_fma_mixlo_f16 v17, v16, v17, v16 op_sel:[0,0,1] op_sel_hi:[1,0,1]
	v_fma_mixlo_f16 v13, v16, v13, v16 op_sel:[0,0,1] op_sel_hi:[1,0,1]
	global_store_short v[14:15], v17, off offset:32
	global_store_short v[14:15], v13, off
	s_andn2_b64 exec, exec, s[38:39]
	s_cbranch_execnz .LBB28_5
	s_branch .LBB28_2
.LBB28_6:
	s_endpgm
	.section	.rodata,"a",@progbits
	.p2align	6, 0x0
	.amdhsa_kernel _ZL10k_get_rowsILi32ELi2EXadL_ZL15dequantize_q5_1PKvliR15HIP_vector_typeIfLj2EEEE6__halfEvS1_PKiPT2_llS2_IjLj3EEmmmmmmmmm
		.amdhsa_group_segment_fixed_size 0
		.amdhsa_private_segment_fixed_size 0
		.amdhsa_kernarg_size 384
		.amdhsa_user_sgpr_count 6
		.amdhsa_user_sgpr_private_segment_buffer 1
		.amdhsa_user_sgpr_dispatch_ptr 0
		.amdhsa_user_sgpr_queue_ptr 0
		.amdhsa_user_sgpr_kernarg_segment_ptr 1
		.amdhsa_user_sgpr_dispatch_id 0
		.amdhsa_user_sgpr_flat_scratch_init 0
		.amdhsa_user_sgpr_kernarg_preload_length 0
		.amdhsa_user_sgpr_kernarg_preload_offset 0
		.amdhsa_user_sgpr_private_segment_size 0
		.amdhsa_uses_dynamic_stack 0
		.amdhsa_system_sgpr_private_segment_wavefront_offset 0
		.amdhsa_system_sgpr_workgroup_id_x 1
		.amdhsa_system_sgpr_workgroup_id_y 1
		.amdhsa_system_sgpr_workgroup_id_z 1
		.amdhsa_system_sgpr_workgroup_info 0
		.amdhsa_system_vgpr_workitem_id 0
		.amdhsa_next_free_vgpr 23
		.amdhsa_next_free_sgpr 48
		.amdhsa_accum_offset 24
		.amdhsa_reserve_vcc 1
		.amdhsa_reserve_flat_scratch 0
		.amdhsa_float_round_mode_32 0
		.amdhsa_float_round_mode_16_64 0
		.amdhsa_float_denorm_mode_32 3
		.amdhsa_float_denorm_mode_16_64 3
		.amdhsa_dx10_clamp 1
		.amdhsa_ieee_mode 1
		.amdhsa_fp16_overflow 0
		.amdhsa_tg_split 0
		.amdhsa_exception_fp_ieee_invalid_op 0
		.amdhsa_exception_fp_denorm_src 0
		.amdhsa_exception_fp_ieee_div_zero 0
		.amdhsa_exception_fp_ieee_overflow 0
		.amdhsa_exception_fp_ieee_underflow 0
		.amdhsa_exception_fp_ieee_inexact 0
		.amdhsa_exception_int_div_zero 0
	.end_amdhsa_kernel
	.section	.text._ZL10k_get_rowsILi32ELi2EXadL_ZL15dequantize_q5_1PKvliR15HIP_vector_typeIfLj2EEEE6__halfEvS1_PKiPT2_llS2_IjLj3EEmmmmmmmmm,"axG",@progbits,_ZL10k_get_rowsILi32ELi2EXadL_ZL15dequantize_q5_1PKvliR15HIP_vector_typeIfLj2EEEE6__halfEvS1_PKiPT2_llS2_IjLj3EEmmmmmmmmm,comdat
.Lfunc_end28:
	.size	_ZL10k_get_rowsILi32ELi2EXadL_ZL15dequantize_q5_1PKvliR15HIP_vector_typeIfLj2EEEE6__halfEvS1_PKiPT2_llS2_IjLj3EEmmmmmmmmm, .Lfunc_end28-_ZL10k_get_rowsILi32ELi2EXadL_ZL15dequantize_q5_1PKvliR15HIP_vector_typeIfLj2EEEE6__halfEvS1_PKiPT2_llS2_IjLj3EEmmmmmmmmm
                                        ; -- End function
	.section	.AMDGPU.csdata,"",@progbits
; Kernel info:
; codeLenInByte = 860
; NumSgprs: 52
; NumVgprs: 23
; NumAgprs: 0
; TotalNumVgprs: 23
; ScratchSize: 0
; MemoryBound: 0
; FloatMode: 240
; IeeeMode: 1
; LDSByteSize: 0 bytes/workgroup (compile time only)
; SGPRBlocks: 6
; VGPRBlocks: 2
; NumSGPRsForWavesPerEU: 52
; NumVGPRsForWavesPerEU: 23
; AccumOffset: 24
; Occupancy: 8
; WaveLimiterHint : 1
; COMPUTE_PGM_RSRC2:SCRATCH_EN: 0
; COMPUTE_PGM_RSRC2:USER_SGPR: 6
; COMPUTE_PGM_RSRC2:TRAP_HANDLER: 0
; COMPUTE_PGM_RSRC2:TGID_X_EN: 1
; COMPUTE_PGM_RSRC2:TGID_Y_EN: 1
; COMPUTE_PGM_RSRC2:TGID_Z_EN: 1
; COMPUTE_PGM_RSRC2:TIDIG_COMP_CNT: 0
; COMPUTE_PGM_RSRC3_GFX90A:ACCUM_OFFSET: 5
; COMPUTE_PGM_RSRC3_GFX90A:TG_SPLIT: 0
	.section	.text._ZL10k_get_rowsILi32ELi1EXadL_ZL15dequantize_q8_0PKvliR15HIP_vector_typeIfLj2EEEE6__halfEvS1_PKiPT2_llS2_IjLj3EEmmmmmmmmm,"axG",@progbits,_ZL10k_get_rowsILi32ELi1EXadL_ZL15dequantize_q8_0PKvliR15HIP_vector_typeIfLj2EEEE6__halfEvS1_PKiPT2_llS2_IjLj3EEmmmmmmmmm,comdat
	.globl	_ZL10k_get_rowsILi32ELi1EXadL_ZL15dequantize_q8_0PKvliR15HIP_vector_typeIfLj2EEEE6__halfEvS1_PKiPT2_llS2_IjLj3EEmmmmmmmmm ; -- Begin function _ZL10k_get_rowsILi32ELi1EXadL_ZL15dequantize_q8_0PKvliR15HIP_vector_typeIfLj2EEEE6__halfEvS1_PKiPT2_llS2_IjLj3EEmmmmmmmmm
	.p2align	8
	.type	_ZL10k_get_rowsILi32ELi1EXadL_ZL15dequantize_q8_0PKvliR15HIP_vector_typeIfLj2EEEE6__halfEvS1_PKiPT2_llS2_IjLj3EEmmmmmmmmm,@function
_ZL10k_get_rowsILi32ELi1EXadL_ZL15dequantize_q8_0PKvliR15HIP_vector_typeIfLj2EEEE6__halfEvS1_PKiPT2_llS2_IjLj3EEmmmmmmmmm: ; @_ZL10k_get_rowsILi32ELi1EXadL_ZL15dequantize_q8_0PKvliR15HIP_vector_typeIfLj2EEEE6__halfEvS1_PKiPT2_llS2_IjLj3EEmmmmmmmmm
; %bb.0:
	s_load_dwordx4 s[28:31], s[4:5], 0x18
	s_load_dwordx2 s[2:3], s[4:5], 0x2c
	s_mov_b32 s9, 0
	v_pk_mov_b32 v[2:3], s[8:9], s[8:9] op_sel:[0,1]
	s_waitcnt lgkmcnt(0)
	s_mul_i32 s0, s3, s31
	s_mul_hi_u32 s1, s3, s30
	s_add_i32 s35, s1, s0
	s_mul_i32 s34, s3, s30
	v_cmp_le_i64_e32 vcc, s[34:35], v[2:3]
	s_cbranch_vccnz .LBB29_6
; %bb.1:
	s_load_dwordx4 s[36:39], s[4:5], 0x0
	s_load_dwordx2 s[42:43], s[4:5], 0x10
	s_load_dwordx2 s[10:11], s[4:5], 0x78
	s_load_dwordx2 s[30:31], s[4:5], 0x88
	s_load_dword s33, s[4:5], 0x28
	s_load_dwordx16 s[12:27], s[4:5], 0x38
	s_add_u32 s4, s4, 0x80
	s_addc_u32 s5, s5, 0
	s_waitcnt lgkmcnt(0)
	s_and_b32 s31, s31, 0xffff
	s_mul_i32 s7, s7, s31
	v_add_lshl_u32 v0, s7, v0, 1
	s_ashr_i32 s7, s6, 31
	s_mul_i32 s25, s6, s25
	s_mul_hi_u32 s40, s6, s24
	s_add_i32 s25, s40, s25
	s_mul_i32 s40, s7, s24
	s_add_i32 s25, s25, s40
	s_mul_i32 s24, s6, s24
	s_lshl_b64 s[24:25], s[24:25], 2
	s_add_u32 s40, s38, s24
	s_mul_i32 s13, s6, s13
	s_mul_hi_u32 s24, s6, s12
	s_addc_u32 s41, s39, s25
	s_add_i32 s13, s24, s13
	s_mul_i32 s7, s7, s12
	s_add_i32 s7, s13, s7
	s_mul_i32 s6, s6, s12
	s_lshl_b64 s[6:7], s[6:7], 1
	v_mov_b32_e32 v1, 0
	s_add_u32 s42, s42, s6
	v_cmp_gt_i64_e64 s[0:1], s[28:29], v[0:1]
	s_addc_u32 s43, s43, s7
	v_lshlrev_b64 v[2:3], 27, v[0:1]
	v_mov_b32_e32 v4, v1
	v_mov_b32_e32 v5, v0
	v_pk_mov_b32 v[6:7], s[34:35], s[34:35] op_sel:[0,1]
	s_mov_b64 s[6:7], s[8:9]
	s_branch .LBB29_3
.LBB29_2:                               ;   in Loop: Header=BB29_3 Depth=1
	s_or_b64 exec, exec, s[12:13]
	s_add_u32 s6, s6, s30
	s_addc_u32 s7, s7, 0
	v_cmp_ge_i64_e32 vcc, s[6:7], v[6:7]
	s_cbranch_vccnz .LBB29_6
.LBB29_3:                               ; =>This Loop Header: Depth=1
                                        ;     Child Loop BB29_5 Depth 2
	s_and_saveexec_b64 s[12:13], s[0:1]
	s_cbranch_execz .LBB29_2
; %bb.4:                                ;   in Loop: Header=BB29_3 Depth=1
	s_mul_hi_u32 s8, s6, s33
	s_add_i32 s8, s8, s6
	s_lshr_b32 s8, s8, s2
	s_mul_i32 s24, s8, s3
	s_sub_i32 s38, s6, s24
	s_ashr_i32 s39, s8, 31
	s_mul_i32 s24, s8, s27
	s_mul_hi_u32 s25, s8, s26
	s_add_i32 s24, s25, s24
	s_mul_i32 s25, s39, s26
	s_ashr_i32 s45, s38, 31
	s_mul_i32 s34, s38, s11
	s_mul_hi_u32 s35, s38, s10
	s_add_i32 s25, s24, s25
	s_mul_i32 s24, s8, s26
	s_add_i32 s34, s35, s34
	s_mul_i32 s35, s45, s10
	s_add_i32 s35, s34, s35
	s_lshl_b64 s[24:25], s[24:25], 2
	s_mul_i32 s34, s38, s10
	s_add_u32 s44, s40, s24
	s_addc_u32 s46, s41, s25
	s_lshl_b64 s[24:25], s[34:35], 2
	s_add_u32 s24, s44, s24
	s_addc_u32 s25, s46, s25
	s_load_dword s34, s[24:25], 0x0
	s_mul_i32 s24, s8, s15
	s_mul_hi_u32 s25, s8, s14
	s_add_i32 s24, s25, s24
	s_mul_i32 s25, s39, s14
	s_add_i32 s25, s24, s25
	s_mul_i32 s24, s8, s14
	s_waitcnt lgkmcnt(0)
	s_ashr_i32 s35, s34, 31
	s_lshl_b64 s[24:25], s[24:25], 1
	s_add_u32 s44, s42, s24
	s_addc_u32 s46, s43, s25
	s_mul_i32 s24, s38, s17
	s_mul_hi_u32 s25, s38, s16
	s_add_i32 s24, s25, s24
	s_mul_i32 s25, s45, s16
	s_add_i32 s25, s24, s25
	s_mul_i32 s24, s38, s16
	s_lshl_b64 s[24:25], s[24:25], 1
	s_add_u32 s44, s44, s24
	s_addc_u32 s46, s46, s25
	s_mul_i32 s24, s34, s19
	s_mul_hi_u32 s25, s34, s18
	s_add_i32 s24, s25, s24
	s_mul_i32 s35, s35, s18
	s_add_i32 s24, s24, s35
	s_mul_i32 s34, s34, s18
	s_add_u32 s25, s36, s34
	s_mul_i32 s34, s8, s21
	s_mul_hi_u32 s35, s8, s20
	s_addc_u32 s24, s37, s24
	s_add_i32 s34, s35, s34
	s_mul_i32 s39, s39, s20
	s_add_i32 s34, s34, s39
	s_mul_i32 s8, s8, s20
	s_add_u32 s8, s25, s8
	s_addc_u32 s25, s24, s34
	s_mul_i32 s24, s38, s23
	s_mul_hi_u32 s34, s38, s22
	s_add_i32 s24, s34, s24
	s_load_dword s34, s[4:5], 0x4
	s_mul_i32 s45, s45, s22
	s_add_i32 s35, s24, s45
	s_mul_i32 s38, s38, s22
	s_add_u32 s24, s8, s38
	s_waitcnt lgkmcnt(0)
	s_mul_i32 s8, s34, s31
	s_addc_u32 s25, s25, s35
	s_lshl_b64 s[34:35], s[8:9], 27
	s_mov_b64 s[38:39], 0
	v_mov_b32_e32 v14, s46
	v_mov_b32_e32 v15, s9
	;; [unrolled: 1-line block ×4, first 2 shown]
	v_pk_mov_b32 v[8:9], v[4:5], v[4:5] op_sel:[0,1]
	v_pk_mov_b32 v[10:11], v[2:3], v[2:3] op_sel:[0,1]
	;; [unrolled: 1-line block ×3, first 2 shown]
.LBB29_5:                               ;   Parent Loop BB29_3 Depth=1
                                        ; =>  This Inner Loop Header: Depth=2
	v_and_b32_e32 v20, 31, v12
	v_mad_i64_i32 v[18:19], s[46:47], v11, 34, s[24:25]
	v_add_co_u32_e32 v20, vcc, v18, v20
	v_addc_co_u32_e32 v21, vcc, 0, v19, vcc
	global_load_ushort v22, v[18:19], off
	global_load_ushort v23, v[20:21], off offset:2
	v_add_co_u32_e32 v12, vcc, s8, v12
	v_addc_co_u32_e32 v13, vcc, v13, v15, vcc
	v_add_co_u32_e32 v10, vcc, s34, v10
	v_addc_co_u32_e32 v11, vcc, v11, v16, vcc
	v_ashrrev_i64 v[18:19], 31, v[8:9]
	v_add_co_u32_e32 v8, vcc, 0, v8
	v_addc_co_u32_e32 v9, vcc, v9, v17, vcc
	v_add_co_u32_e32 v18, vcc, s44, v18
	v_addc_co_u32_e32 v19, vcc, v14, v19, vcc
	v_cmp_le_i64_e32 vcc, s[28:29], v[12:13]
	s_or_b64 s[38:39], vcc, s[38:39]
	s_waitcnt vmcnt(1)
	v_cvt_f32_f16_e32 v20, v22
	s_waitcnt vmcnt(0)
	v_bfe_i32 v21, v23, 0, 8
	v_ashrrev_i16_e32 v22, 8, v23
	v_cvt_f32_i32_sdwa v23, sext(v22) dst_sel:DWORD dst_unused:UNUSED_PAD src0_sel:WORD_0
	v_cvt_f32_i32_sdwa v22, sext(v21) dst_sel:DWORD dst_unused:UNUSED_PAD src0_sel:WORD_0
	v_pk_mul_f32 v[20:21], v[20:21], v[22:23] op_sel_hi:[0,1]
	v_cvt_f16_f32_e32 v21, v21
	v_cvt_f16_f32_e32 v20, v20
	v_pack_b32_f16 v20, v20, v21
	global_store_dword v[18:19], v20, off
	s_andn2_b64 exec, exec, s[38:39]
	s_cbranch_execnz .LBB29_5
	s_branch .LBB29_2
.LBB29_6:
	s_endpgm
	.section	.rodata,"a",@progbits
	.p2align	6, 0x0
	.amdhsa_kernel _ZL10k_get_rowsILi32ELi1EXadL_ZL15dequantize_q8_0PKvliR15HIP_vector_typeIfLj2EEEE6__halfEvS1_PKiPT2_llS2_IjLj3EEmmmmmmmmm
		.amdhsa_group_segment_fixed_size 0
		.amdhsa_private_segment_fixed_size 0
		.amdhsa_kernarg_size 384
		.amdhsa_user_sgpr_count 6
		.amdhsa_user_sgpr_private_segment_buffer 1
		.amdhsa_user_sgpr_dispatch_ptr 0
		.amdhsa_user_sgpr_queue_ptr 0
		.amdhsa_user_sgpr_kernarg_segment_ptr 1
		.amdhsa_user_sgpr_dispatch_id 0
		.amdhsa_user_sgpr_flat_scratch_init 0
		.amdhsa_user_sgpr_kernarg_preload_length 0
		.amdhsa_user_sgpr_kernarg_preload_offset 0
		.amdhsa_user_sgpr_private_segment_size 0
		.amdhsa_uses_dynamic_stack 0
		.amdhsa_system_sgpr_private_segment_wavefront_offset 0
		.amdhsa_system_sgpr_workgroup_id_x 1
		.amdhsa_system_sgpr_workgroup_id_y 1
		.amdhsa_system_sgpr_workgroup_id_z 1
		.amdhsa_system_sgpr_workgroup_info 0
		.amdhsa_system_vgpr_workitem_id 0
		.amdhsa_next_free_vgpr 24
		.amdhsa_next_free_sgpr 48
		.amdhsa_accum_offset 24
		.amdhsa_reserve_vcc 1
		.amdhsa_reserve_flat_scratch 0
		.amdhsa_float_round_mode_32 0
		.amdhsa_float_round_mode_16_64 0
		.amdhsa_float_denorm_mode_32 3
		.amdhsa_float_denorm_mode_16_64 3
		.amdhsa_dx10_clamp 1
		.amdhsa_ieee_mode 1
		.amdhsa_fp16_overflow 0
		.amdhsa_tg_split 0
		.amdhsa_exception_fp_ieee_invalid_op 0
		.amdhsa_exception_fp_denorm_src 0
		.amdhsa_exception_fp_ieee_div_zero 0
		.amdhsa_exception_fp_ieee_overflow 0
		.amdhsa_exception_fp_ieee_underflow 0
		.amdhsa_exception_fp_ieee_inexact 0
		.amdhsa_exception_int_div_zero 0
	.end_amdhsa_kernel
	.section	.text._ZL10k_get_rowsILi32ELi1EXadL_ZL15dequantize_q8_0PKvliR15HIP_vector_typeIfLj2EEEE6__halfEvS1_PKiPT2_llS2_IjLj3EEmmmmmmmmm,"axG",@progbits,_ZL10k_get_rowsILi32ELi1EXadL_ZL15dequantize_q8_0PKvliR15HIP_vector_typeIfLj2EEEE6__halfEvS1_PKiPT2_llS2_IjLj3EEmmmmmmmmm,comdat
.Lfunc_end29:
	.size	_ZL10k_get_rowsILi32ELi1EXadL_ZL15dequantize_q8_0PKvliR15HIP_vector_typeIfLj2EEEE6__halfEvS1_PKiPT2_llS2_IjLj3EEmmmmmmmmm, .Lfunc_end29-_ZL10k_get_rowsILi32ELi1EXadL_ZL15dequantize_q8_0PKvliR15HIP_vector_typeIfLj2EEEE6__halfEvS1_PKiPT2_llS2_IjLj3EEmmmmmmmmm
                                        ; -- End function
	.section	.AMDGPU.csdata,"",@progbits
; Kernel info:
; codeLenInByte = 808
; NumSgprs: 52
; NumVgprs: 24
; NumAgprs: 0
; TotalNumVgprs: 24
; ScratchSize: 0
; MemoryBound: 0
; FloatMode: 240
; IeeeMode: 1
; LDSByteSize: 0 bytes/workgroup (compile time only)
; SGPRBlocks: 6
; VGPRBlocks: 2
; NumSGPRsForWavesPerEU: 52
; NumVGPRsForWavesPerEU: 24
; AccumOffset: 24
; Occupancy: 8
; WaveLimiterHint : 1
; COMPUTE_PGM_RSRC2:SCRATCH_EN: 0
; COMPUTE_PGM_RSRC2:USER_SGPR: 6
; COMPUTE_PGM_RSRC2:TRAP_HANDLER: 0
; COMPUTE_PGM_RSRC2:TGID_X_EN: 1
; COMPUTE_PGM_RSRC2:TGID_Y_EN: 1
; COMPUTE_PGM_RSRC2:TGID_Z_EN: 1
; COMPUTE_PGM_RSRC2:TIDIG_COMP_CNT: 0
; COMPUTE_PGM_RSRC3_GFX90A:ACCUM_OFFSET: 5
; COMPUTE_PGM_RSRC3_GFX90A:TG_SPLIT: 0
	.section	.text._ZL16k_get_rows_floatI6__half14__hip_bfloat16EvPKT_PKiPT0_ll15HIP_vector_typeIjLj3EEmmmmmmmmm,"axG",@progbits,_ZL16k_get_rows_floatI6__half14__hip_bfloat16EvPKT_PKiPT0_ll15HIP_vector_typeIjLj3EEmmmmmmmmm,comdat
	.globl	_ZL16k_get_rows_floatI6__half14__hip_bfloat16EvPKT_PKiPT0_ll15HIP_vector_typeIjLj3EEmmmmmmmmm ; -- Begin function _ZL16k_get_rows_floatI6__half14__hip_bfloat16EvPKT_PKiPT0_ll15HIP_vector_typeIjLj3EEmmmmmmmmm
	.p2align	8
	.type	_ZL16k_get_rows_floatI6__half14__hip_bfloat16EvPKT_PKiPT0_ll15HIP_vector_typeIjLj3EEmmmmmmmmm,@function
_ZL16k_get_rows_floatI6__half14__hip_bfloat16EvPKT_PKiPT0_ll15HIP_vector_typeIjLj3EEmmmmmmmmm: ; @_ZL16k_get_rows_floatI6__half14__hip_bfloat16EvPKT_PKiPT0_ll15HIP_vector_typeIjLj3EEmmmmmmmmm
; %bb.0:
	s_load_dwordx2 s[0:1], s[4:5], 0x20
	s_load_dwordx2 s[2:3], s[4:5], 0x2c
	s_mov_b32 s9, 0
	v_pk_mov_b32 v[2:3], s[8:9], s[8:9] op_sel:[0,1]
	s_waitcnt lgkmcnt(0)
	s_mul_i32 s1, s3, s1
	s_mul_hi_u32 s10, s3, s0
	s_add_i32 s31, s10, s1
	s_mul_i32 s30, s3, s0
	v_cmp_le_i64_e32 vcc, s[30:31], v[2:3]
	s_cbranch_vccnz .LBB30_10
; %bb.1:
	s_load_dwordx8 s[36:43], s[4:5], 0x0
	s_load_dwordx2 s[10:11], s[4:5], 0x78
	s_load_dwordx2 s[28:29], s[4:5], 0x88
	s_load_dword s33, s[4:5], 0x28
	s_load_dwordx16 s[12:27], s[4:5], 0x38
	s_add_u32 s4, s4, 0x80
	s_addc_u32 s5, s5, 0
	s_waitcnt lgkmcnt(0)
	s_and_b32 s29, s29, 0xffff
	s_mul_i32 s7, s7, s29
	v_add_u32_e32 v0, s7, v0
	s_ashr_i32 s7, s6, 31
	s_mul_i32 s25, s6, s25
	s_mul_hi_u32 s34, s6, s24
	s_add_i32 s25, s34, s25
	s_mul_i32 s34, s7, s24
	s_add_i32 s25, s25, s34
	s_mul_i32 s24, s6, s24
	s_lshl_b64 s[24:25], s[24:25], 2
	s_add_u32 s38, s38, s24
	s_mul_hi_u32 s24, s12, s6
	s_mul_i32 s7, s12, s7
	s_addc_u32 s39, s39, s25
	s_add_i32 s7, s24, s7
	s_mul_i32 s13, s13, s6
	s_add_i32 s7, s7, s13
	s_mul_i32 s6, s12, s6
	s_lshl_b64 s[6:7], s[6:7], 1
	v_mov_b32_e32 v1, 0
	s_add_u32 s6, s40, s6
	v_lshlrev_b64 v[2:3], 1, v[0:1]
	s_addc_u32 s7, s41, s7
	v_mov_b32_e32 v4, s7
	v_add_co_u32_e32 v6, vcc, s6, v2
	v_addc_co_u32_e32 v7, vcc, v4, v3, vcc
	v_mov_b32_e32 v4, s37
	v_add_co_u32_e32 v8, vcc, s36, v2
	v_cmp_gt_i64_e64 s[0:1], s[42:43], v[0:1]
	s_lshl_b64 s[6:7], s[14:15], 1
	s_lshl_b64 s[12:13], s[16:17], 1
	v_addc_co_u32_e32 v9, vcc, v4, v3, vcc
	s_mov_b32 s40, 0x7f800000
	s_movk_i32 s41, 0x7fff
	v_pk_mov_b32 v[2:3], s[30:31], s[30:31] op_sel:[0,1]
	s_mov_b64 s[14:15], s[8:9]
	s_branch .LBB30_3
.LBB30_2:                               ;   in Loop: Header=BB30_3 Depth=1
	s_or_b64 exec, exec, s[16:17]
	s_add_u32 s14, s14, s28
	s_addc_u32 s15, s15, 0
	v_cmp_lt_i64_e32 vcc, s[14:15], v[2:3]
	s_cbranch_vccz .LBB30_10
.LBB30_3:                               ; =>This Loop Header: Depth=1
                                        ;     Child Loop BB30_6 Depth 2
	s_and_saveexec_b64 s[16:17], s[0:1]
	s_cbranch_execz .LBB30_2
; %bb.4:                                ;   in Loop: Header=BB30_3 Depth=1
	s_mul_hi_u32 s8, s14, s33
	s_add_i32 s8, s8, s14
	s_lshr_b32 s34, s8, s2
	s_mul_i32 s8, s34, s3
	s_sub_i32 s35, s14, s8
	s_ashr_i32 s36, s34, 31
	s_mul_i32 s8, s34, s27
	s_mul_hi_u32 s24, s34, s26
	s_add_i32 s8, s24, s8
	s_mul_i32 s24, s36, s26
	s_add_i32 s25, s8, s24
	s_ashr_i32 s37, s35, 31
	s_mul_i32 s8, s35, s11
	s_mul_hi_u32 s30, s35, s10
	s_mul_i32 s24, s34, s26
	s_add_i32 s8, s30, s8
	s_mul_i32 s30, s37, s10
	s_add_i32 s31, s8, s30
	s_lshl_b64 s[24:25], s[24:25], 2
	s_mul_i32 s30, s35, s10
	s_add_u32 s8, s38, s24
	s_addc_u32 s44, s39, s25
	s_lshl_b64 s[24:25], s[30:31], 2
	s_add_u32 s24, s8, s24
	s_addc_u32 s25, s44, s25
	s_load_dword s8, s[24:25], 0x0
	s_mul_i32 s45, s34, s20
	v_mov_b32_e32 v14, s9
	s_waitcnt lgkmcnt(0)
	s_ashr_i32 s24, s8, 31
	s_mul_i32 s25, s8, s19
	s_mul_hi_u32 s30, s8, s18
	s_add_i32 s25, s30, s25
	s_mul_i32 s24, s24, s18
	s_add_i32 s30, s25, s24
	s_load_dword s25, s[4:5], 0x4
	s_mul_i32 s31, s8, s18
	s_mul_i32 s8, s34, s21
	s_mul_hi_u32 s24, s34, s20
	s_add_i32 s8, s24, s8
	s_mul_i32 s24, s36, s20
	s_add_i32 s44, s8, s24
	s_waitcnt lgkmcnt(0)
	s_mul_i32 s8, s25, s29
	s_mul_i32 s24, s6, s36
	s_mul_hi_u32 s25, s6, s34
	s_add_i32 s24, s25, s24
	s_mul_i32 s25, s7, s34
	s_add_i32 s24, s24, s25
	s_mul_i32 s25, s6, s34
	s_mul_i32 s34, s12, s37
	s_mul_hi_u32 s36, s12, s35
	s_add_i32 s34, s36, s34
	s_mul_i32 s36, s13, s35
	s_add_i32 s34, s34, s36
	s_mul_i32 s36, s12, s35
	s_add_u32 s25, s25, s36
	s_addc_u32 s24, s24, s34
	v_mov_b32_e32 v4, s24
	v_add_co_u32_e32 v10, vcc, s25, v6
	s_lshl_b64 s[24:25], s[8:9], 1
	s_add_u32 s31, s45, s31
	s_mul_i32 s34, s22, s37
	s_mul_hi_u32 s36, s22, s35
	s_addc_u32 s30, s44, s30
	s_add_i32 s34, s36, s34
	s_mul_i32 s36, s23, s35
	s_add_i32 s34, s34, s36
	s_mul_i32 s35, s22, s35
	s_add_u32 s31, s31, s35
	v_addc_co_u32_e32 v11, vcc, v7, v4, vcc
	s_addc_u32 s30, s30, s34
	v_mov_b32_e32 v4, s30
	v_add_co_u32_e32 v12, vcc, s31, v8
	v_addc_co_u32_e32 v13, vcc, v9, v4, vcc
	s_mov_b64 s[30:31], 0
	s_mov_b64 s[34:35], 0
	v_pk_mov_b32 v[4:5], v[0:1], v[0:1] op_sel:[0,1]
	s_branch .LBB30_6
.LBB30_5:                               ;   in Loop: Header=BB30_6 Depth=2
	s_or_b64 exec, exec, s[36:37]
	v_mov_b32_e32 v17, s35
	v_add_co_u32_e32 v16, vcc, s34, v10
	v_addc_co_u32_e32 v17, vcc, v11, v17, vcc
	v_add_co_u32_e32 v4, vcc, s8, v4
	v_addc_co_u32_e32 v5, vcc, v5, v14, vcc
	s_add_u32 s34, s34, s24
	s_addc_u32 s35, s35, s25
	v_cmp_le_i64_e32 vcc, s[42:43], v[4:5]
	s_or_b64 s[30:31], vcc, s[30:31]
	global_store_short_d16_hi v[16:17], v15, off
	s_andn2_b64 exec, exec, s[30:31]
	s_cbranch_execz .LBB30_2
.LBB30_6:                               ;   Parent Loop BB30_3 Depth=1
                                        ; =>  This Inner Loop Header: Depth=2
	v_mov_b32_e32 v15, s35
	v_add_co_u32_e32 v16, vcc, s34, v12
	v_addc_co_u32_e32 v17, vcc, v13, v15, vcc
	global_load_ushort v15, v[16:17], off
	s_waitcnt vmcnt(0)
	v_cvt_f32_f16_e32 v16, v15
	v_and_b32_e32 v15, 0x7f800000, v16
	v_cmp_ne_u32_e32 vcc, s40, v15
                                        ; implicit-def: $vgpr15
	s_and_saveexec_b64 s[36:37], vcc
	s_xor_b64 s[36:37], exec, s[36:37]
; %bb.7:                                ;   in Loop: Header=BB30_6 Depth=2
	v_bfe_u32 v15, v16, 16, 1
	v_add3_u32 v15, v16, v15, s41
                                        ; implicit-def: $vgpr16
; %bb.8:                                ;   in Loop: Header=BB30_6 Depth=2
	s_andn2_saveexec_b64 s[36:37], s[36:37]
	s_cbranch_execz .LBB30_5
; %bb.9:                                ;   in Loop: Header=BB30_6 Depth=2
	v_or_b32_e32 v15, 0x10000, v16
	v_cmp_eq_u32_sdwa vcc, v16, v1 src0_sel:WORD_0 src1_sel:DWORD
	v_cndmask_b32_e32 v15, v15, v16, vcc
	s_branch .LBB30_5
.LBB30_10:
	s_endpgm
	.section	.rodata,"a",@progbits
	.p2align	6, 0x0
	.amdhsa_kernel _ZL16k_get_rows_floatI6__half14__hip_bfloat16EvPKT_PKiPT0_ll15HIP_vector_typeIjLj3EEmmmmmmmmm
		.amdhsa_group_segment_fixed_size 0
		.amdhsa_private_segment_fixed_size 0
		.amdhsa_kernarg_size 384
		.amdhsa_user_sgpr_count 6
		.amdhsa_user_sgpr_private_segment_buffer 1
		.amdhsa_user_sgpr_dispatch_ptr 0
		.amdhsa_user_sgpr_queue_ptr 0
		.amdhsa_user_sgpr_kernarg_segment_ptr 1
		.amdhsa_user_sgpr_dispatch_id 0
		.amdhsa_user_sgpr_flat_scratch_init 0
		.amdhsa_user_sgpr_kernarg_preload_length 0
		.amdhsa_user_sgpr_kernarg_preload_offset 0
		.amdhsa_user_sgpr_private_segment_size 0
		.amdhsa_uses_dynamic_stack 0
		.amdhsa_system_sgpr_private_segment_wavefront_offset 0
		.amdhsa_system_sgpr_workgroup_id_x 1
		.amdhsa_system_sgpr_workgroup_id_y 1
		.amdhsa_system_sgpr_workgroup_id_z 1
		.amdhsa_system_sgpr_workgroup_info 0
		.amdhsa_system_vgpr_workitem_id 0
		.amdhsa_next_free_vgpr 18
		.amdhsa_next_free_sgpr 46
		.amdhsa_accum_offset 20
		.amdhsa_reserve_vcc 1
		.amdhsa_reserve_flat_scratch 0
		.amdhsa_float_round_mode_32 0
		.amdhsa_float_round_mode_16_64 0
		.amdhsa_float_denorm_mode_32 3
		.amdhsa_float_denorm_mode_16_64 3
		.amdhsa_dx10_clamp 1
		.amdhsa_ieee_mode 1
		.amdhsa_fp16_overflow 0
		.amdhsa_tg_split 0
		.amdhsa_exception_fp_ieee_invalid_op 0
		.amdhsa_exception_fp_denorm_src 0
		.amdhsa_exception_fp_ieee_div_zero 0
		.amdhsa_exception_fp_ieee_overflow 0
		.amdhsa_exception_fp_ieee_underflow 0
		.amdhsa_exception_fp_ieee_inexact 0
		.amdhsa_exception_int_div_zero 0
	.end_amdhsa_kernel
	.section	.text._ZL16k_get_rows_floatI6__half14__hip_bfloat16EvPKT_PKiPT0_ll15HIP_vector_typeIjLj3EEmmmmmmmmm,"axG",@progbits,_ZL16k_get_rows_floatI6__half14__hip_bfloat16EvPKT_PKiPT0_ll15HIP_vector_typeIjLj3EEmmmmmmmmm,comdat
.Lfunc_end30:
	.size	_ZL16k_get_rows_floatI6__half14__hip_bfloat16EvPKT_PKiPT0_ll15HIP_vector_typeIjLj3EEmmmmmmmmm, .Lfunc_end30-_ZL16k_get_rows_floatI6__half14__hip_bfloat16EvPKT_PKiPT0_ll15HIP_vector_typeIjLj3EEmmmmmmmmm
                                        ; -- End function
	.section	.AMDGPU.csdata,"",@progbits
; Kernel info:
; codeLenInByte = 796
; NumSgprs: 50
; NumVgprs: 18
; NumAgprs: 0
; TotalNumVgprs: 18
; ScratchSize: 0
; MemoryBound: 0
; FloatMode: 240
; IeeeMode: 1
; LDSByteSize: 0 bytes/workgroup (compile time only)
; SGPRBlocks: 6
; VGPRBlocks: 2
; NumSGPRsForWavesPerEU: 50
; NumVGPRsForWavesPerEU: 18
; AccumOffset: 20
; Occupancy: 8
; WaveLimiterHint : 1
; COMPUTE_PGM_RSRC2:SCRATCH_EN: 0
; COMPUTE_PGM_RSRC2:USER_SGPR: 6
; COMPUTE_PGM_RSRC2:TRAP_HANDLER: 0
; COMPUTE_PGM_RSRC2:TGID_X_EN: 1
; COMPUTE_PGM_RSRC2:TGID_Y_EN: 1
; COMPUTE_PGM_RSRC2:TGID_Z_EN: 1
; COMPUTE_PGM_RSRC2:TIDIG_COMP_CNT: 0
; COMPUTE_PGM_RSRC3_GFX90A:ACCUM_OFFSET: 4
; COMPUTE_PGM_RSRC3_GFX90A:TG_SPLIT: 0
	.section	.text._ZL16k_get_rows_floatIf14__hip_bfloat16EvPKT_PKiPT0_ll15HIP_vector_typeIjLj3EEmmmmmmmmm,"axG",@progbits,_ZL16k_get_rows_floatIf14__hip_bfloat16EvPKT_PKiPT0_ll15HIP_vector_typeIjLj3EEmmmmmmmmm,comdat
	.globl	_ZL16k_get_rows_floatIf14__hip_bfloat16EvPKT_PKiPT0_ll15HIP_vector_typeIjLj3EEmmmmmmmmm ; -- Begin function _ZL16k_get_rows_floatIf14__hip_bfloat16EvPKT_PKiPT0_ll15HIP_vector_typeIjLj3EEmmmmmmmmm
	.p2align	8
	.type	_ZL16k_get_rows_floatIf14__hip_bfloat16EvPKT_PKiPT0_ll15HIP_vector_typeIjLj3EEmmmmmmmmm,@function
_ZL16k_get_rows_floatIf14__hip_bfloat16EvPKT_PKiPT0_ll15HIP_vector_typeIjLj3EEmmmmmmmmm: ; @_ZL16k_get_rows_floatIf14__hip_bfloat16EvPKT_PKiPT0_ll15HIP_vector_typeIjLj3EEmmmmmmmmm
; %bb.0:
	s_load_dwordx2 s[0:1], s[4:5], 0x20
	s_load_dwordx2 s[10:11], s[4:5], 0x2c
	s_mov_b32 s9, 0
	v_pk_mov_b32 v[2:3], s[8:9], s[8:9] op_sel:[0,1]
	s_waitcnt lgkmcnt(0)
	s_mul_i32 s1, s11, s1
	s_mul_hi_u32 s2, s11, s0
	s_add_i32 s29, s2, s1
	s_mul_i32 s28, s11, s0
	v_cmp_le_i64_e32 vcc, s[28:29], v[2:3]
	s_cbranch_vccnz .LBB31_23
; %bb.1:
	s_load_dwordx8 s[36:43], s[4:5], 0x0
	s_load_dwordx2 s[30:31], s[4:5], 0x78
	s_load_dwordx2 s[34:35], s[4:5], 0x88
	s_load_dword s33, s[4:5], 0x28
	s_load_dwordx16 s[12:27], s[4:5], 0x38
	s_add_u32 s44, s4, 0x80
	s_addc_u32 s45, s5, 0
	s_ashr_i32 s4, s6, 31
	s_waitcnt lgkmcnt(0)
	s_and_b32 s35, s35, 0xffff
	s_mul_i32 s2, s6, s25
	s_mul_hi_u32 s3, s6, s24
	s_add_i32 s2, s3, s2
	s_mul_i32 s3, s4, s24
	s_add_i32 s3, s2, s3
	s_mul_i32 s2, s6, s24
	s_lshl_b64 s[2:3], s[2:3], 2
	s_add_u32 s52, s38, s2
	s_addc_u32 s53, s39, s3
	s_mul_hi_u32 s2, s12, s6
	s_mul_i32 s3, s12, s4
	s_mul_i32 s7, s7, s35
	v_mov_b32_e32 v2, 0
	s_add_i32 s2, s2, s3
	s_mul_i32 s3, s13, s6
	v_add_u32_e32 v0, s7, v0
	v_mov_b32_e32 v1, v2
	s_add_i32 s3, s2, s3
	s_mul_i32 s2, s12, s6
	v_lshlrev_b64 v[4:5], 2, v[0:1]
	s_lshl_b64 s[2:3], s[2:3], 1
	v_mov_b32_e32 v3, s37
	v_add_co_u32_e32 v22, vcc, s36, v4
	s_add_u32 s54, s40, s2
	v_addc_co_u32_e32 v23, vcc, v3, v5, vcc
	v_lshlrev_b64 v[6:7], 1, v[0:1]
	s_addc_u32 s55, s41, s3
	v_mov_b32_e32 v3, s55
	v_add_co_u32_e32 v24, vcc, s54, v6
	v_cmp_gt_i64_e64 s[0:1], s[42:43], v[0:1]
	v_addc_co_u32_e32 v25, vcc, v3, v7, vcc
	s_lshl_b64 s[6:7], s[14:15], 1
	s_lshl_b64 s[12:13], s[16:17], 1
	s_mov_b32 s56, 0x7f800000
	s_movk_i32 s57, 0x7fff
	v_mov_b32_e32 v26, 0x4f800000
	s_mov_b64 s[14:15], s[8:9]
	s_branch .LBB31_3
.LBB31_2:                               ;   in Loop: Header=BB31_3 Depth=1
	s_or_b64 exec, exec, s[16:17]
	s_add_u32 s14, s14, s34
	s_addc_u32 s15, s15, 0
	v_pk_mov_b32 v[8:9], s[28:29], s[28:29] op_sel:[0,1]
	v_cmp_lt_i64_e32 vcc, s[14:15], v[8:9]
	s_cbranch_vccz .LBB31_23
.LBB31_3:                               ; =>This Loop Header: Depth=1
                                        ;     Child Loop BB31_10 Depth 2
                                        ;     Child Loop BB31_19 Depth 2
	s_and_saveexec_b64 s[16:17], s[0:1]
	s_cbranch_execz .LBB31_2
; %bb.4:                                ;   in Loop: Header=BB31_3 Depth=1
	s_mul_hi_u32 s2, s14, s33
	s_add_i32 s2, s2, s14
	s_lshr_b32 s41, s2, s10
	s_mul_i32 s2, s41, s11
	s_sub_i32 s40, s14, s2
	s_ashr_i32 s46, s41, 31
	s_mul_i32 s2, s41, s27
	s_mul_hi_u32 s3, s41, s26
	s_add_i32 s2, s3, s2
	s_mul_i32 s3, s46, s26
	s_ashr_i32 s47, s40, 31
	s_mul_i32 s4, s40, s31
	s_mul_hi_u32 s5, s40, s30
	s_load_dword s38, s[44:45], 0x4
	s_add_i32 s3, s2, s3
	s_mul_i32 s2, s41, s26
	s_add_i32 s4, s5, s4
	s_mul_i32 s5, s47, s30
	s_add_i32 s5, s4, s5
	s_lshl_b64 s[2:3], s[2:3], 2
	s_mul_i32 s4, s40, s30
	s_add_u32 s8, s52, s2
	s_addc_u32 s25, s53, s3
	s_lshl_b64 s[2:3], s[4:5], 2
	s_add_u32 s24, s8, s2
	s_waitcnt lgkmcnt(0)
	s_mul_i32 s8, s38, s35
	v_add_co_u32_e32 v8, vcc, s8, v0
	s_addc_u32 s25, s25, s3
	v_addc_co_u32_e64 v9, s[2:3], 0, 0, vcc
	v_cmp_gt_i64_e64 s[2:3], s[42:43], v[8:9]
	v_mov_b32_e32 v10, s42
	v_mov_b32_e32 v3, s43
	v_cndmask_b32_e64 v10, v8, v10, s[2:3]
	v_cndmask_b32_e64 v11, 0, 1, s[2:3]
	;; [unrolled: 1-line block ×3, first 2 shown]
	v_sub_co_u32_e32 v10, vcc, v10, v11
	v_subbrev_co_u32_e32 v3, vcc, 0, v3, vcc
	v_sub_co_u32_e32 v10, vcc, v10, v8
	v_subb_co_u32_e32 v3, vcc, v3, v9, vcc
	v_cmp_ne_u64_e32 vcc, 0, v[2:3]
                                        ; implicit-def: $vgpr8_vgpr9
	s_and_saveexec_b64 s[4:5], vcc
	s_xor_b64 s[38:39], exec, s[4:5]
	s_cbranch_execz .LBB31_6
; %bb.5:                                ;   in Loop: Header=BB31_3 Depth=1
	v_cvt_f32_u32_e32 v8, s8
	s_sub_u32 s4, 0, s8
	s_subb_u32 s5, 0, 0
	v_mac_f32_e32 v8, 0, v26
	v_rcp_f32_e32 v8, v8
	v_mul_f32_e32 v8, 0x5f7ffffc, v8
	v_mul_f32_e32 v9, 0x2f800000, v8
	v_trunc_f32_e32 v9, v9
	v_mac_f32_e32 v8, 0xcf800000, v9
	v_cvt_u32_f32_e32 v9, v9
	v_cvt_u32_f32_e32 v8, v8
	v_mul_lo_u32 v11, s4, v9
	v_mul_hi_u32 v13, s4, v8
	v_mul_lo_u32 v12, s5, v8
	v_add_u32_e32 v11, v13, v11
	v_mul_lo_u32 v14, s4, v8
	v_add_u32_e32 v11, v11, v12
	v_mul_hi_u32 v13, v8, v14
	v_mul_lo_u32 v15, v8, v11
	v_mul_hi_u32 v12, v8, v11
	v_add_co_u32_e32 v13, vcc, v13, v15
	v_addc_co_u32_e32 v12, vcc, 0, v12, vcc
	v_mul_hi_u32 v16, v9, v14
	v_mul_lo_u32 v14, v9, v14
	v_add_co_u32_e32 v13, vcc, v13, v14
	v_mul_hi_u32 v15, v9, v11
	v_addc_co_u32_e32 v12, vcc, v12, v16, vcc
	v_addc_co_u32_e32 v13, vcc, 0, v15, vcc
	v_mul_lo_u32 v11, v9, v11
	v_add_co_u32_e32 v11, vcc, v12, v11
	v_addc_co_u32_e32 v12, vcc, 0, v13, vcc
	v_add_co_u32_e32 v8, vcc, v8, v11
	v_addc_co_u32_e32 v9, vcc, v9, v12, vcc
	v_mul_lo_u32 v11, s4, v9
	v_mul_hi_u32 v12, s4, v8
	v_add_u32_e32 v11, v12, v11
	v_mul_lo_u32 v12, s5, v8
	v_add_u32_e32 v11, v11, v12
	v_mul_lo_u32 v13, s4, v8
	v_mul_hi_u32 v14, v9, v13
	v_mul_lo_u32 v15, v9, v13
	v_mul_lo_u32 v17, v8, v11
	v_mul_hi_u32 v13, v8, v13
	v_mul_hi_u32 v16, v8, v11
	v_add_co_u32_e32 v13, vcc, v13, v17
	v_addc_co_u32_e32 v16, vcc, 0, v16, vcc
	v_add_co_u32_e32 v13, vcc, v13, v15
	v_mul_hi_u32 v12, v9, v11
	v_addc_co_u32_e32 v13, vcc, v16, v14, vcc
	v_addc_co_u32_e32 v12, vcc, 0, v12, vcc
	v_mul_lo_u32 v11, v9, v11
	v_add_co_u32_e32 v11, vcc, v13, v11
	v_addc_co_u32_e32 v12, vcc, 0, v12, vcc
	v_add_co_u32_e32 v11, vcc, v8, v11
	v_addc_co_u32_e32 v12, vcc, v9, v12, vcc
	v_mad_u64_u32 v[8:9], s[4:5], v10, v12, 0
	v_mul_hi_u32 v13, v10, v11
	v_add_co_u32_e32 v14, vcc, v13, v8
	v_addc_co_u32_e32 v15, vcc, 0, v9, vcc
	v_mad_u64_u32 v[8:9], s[4:5], v3, v12, 0
	v_mad_u64_u32 v[12:13], s[4:5], v3, v11, 0
	v_add_co_u32_e32 v11, vcc, v14, v12
	v_addc_co_u32_e32 v11, vcc, v15, v13, vcc
	v_addc_co_u32_e32 v9, vcc, 0, v9, vcc
	v_add_co_u32_e32 v11, vcc, v11, v8
	v_addc_co_u32_e32 v14, vcc, 0, v9, vcc
	v_mad_u64_u32 v[8:9], s[4:5], s8, v11, 0
	v_mov_b32_e32 v12, v9
	v_mad_u64_u32 v[12:13], s[4:5], s8, v14, v[12:13]
	v_sub_co_u32_e32 v8, vcc, v10, v8
	v_subb_co_u32_e32 v3, vcc, v3, v12, vcc
	v_subrev_co_u32_e32 v9, vcc, s8, v8
	v_subbrev_co_u32_e32 v10, vcc, 0, v3, vcc
	v_cmp_le_u32_e32 vcc, s8, v9
	v_cndmask_b32_e64 v9, 0, -1, vcc
	v_cmp_eq_u32_e32 vcc, 0, v10
	v_cndmask_b32_e32 v9, -1, v9, vcc
	v_add_co_u32_e32 v10, vcc, 2, v11
	v_addc_co_u32_e32 v12, vcc, 0, v14, vcc
	v_add_co_u32_e32 v13, vcc, 1, v11
	v_cmp_le_u32_e64 s[4:5], s8, v8
	v_addc_co_u32_e32 v15, vcc, 0, v14, vcc
	v_cndmask_b32_e64 v8, 0, -1, s[4:5]
	v_cmp_eq_u32_e64 s[4:5], 0, v3
	v_cmp_ne_u32_e32 vcc, 0, v9
	v_cndmask_b32_e64 v3, -1, v8, s[4:5]
	v_cndmask_b32_e32 v9, v15, v12, vcc
	v_cmp_ne_u32_e64 s[4:5], 0, v3
	v_cndmask_b32_e32 v3, v13, v10, vcc
	v_cndmask_b32_e64 v9, v14, v9, s[4:5]
	v_cndmask_b32_e64 v8, v11, v3, s[4:5]
                                        ; implicit-def: $vgpr10
.LBB31_6:                               ;   in Loop: Header=BB31_3 Depth=1
	s_or_saveexec_b64 s[4:5], s[38:39]
	s_load_dword s59, s[24:25], 0x0
	s_xor_b64 exec, exec, s[4:5]
	s_cbranch_execz .LBB31_8
; %bb.7:                                ;   in Loop: Header=BB31_3 Depth=1
	v_cvt_f32_u32_e32 v3, s8
	s_sub_i32 s24, 0, s8
	v_rcp_iflag_f32_e32 v3, v3
	v_mul_f32_e32 v3, 0x4f7ffffe, v3
	v_cvt_u32_f32_e32 v3, v3
	v_mul_lo_u32 v8, s24, v3
	v_mul_hi_u32 v8, v3, v8
	v_add_u32_e32 v3, v3, v8
	v_mul_hi_u32 v3, v10, v3
	v_mul_lo_u32 v8, v3, s8
	v_sub_u32_e32 v8, v10, v8
	v_add_u32_e32 v9, 1, v3
	v_subrev_u32_e32 v10, s8, v8
	v_cmp_le_u32_e32 vcc, s8, v8
	v_cndmask_b32_e32 v8, v8, v10, vcc
	v_cndmask_b32_e32 v3, v3, v9, vcc
	v_add_u32_e32 v9, 1, v3
	v_cmp_le_u32_e32 vcc, s8, v8
	v_cndmask_b32_e32 v8, v3, v9, vcc
	v_mov_b32_e32 v9, v2
.LBB31_8:                               ;   in Loop: Header=BB31_3 Depth=1
	s_or_b64 exec, exec, s[4:5]
	s_waitcnt lgkmcnt(0)
	s_ashr_i32 s4, s59, 31
	s_mul_i32 s5, s59, s19
	s_mul_hi_u32 s24, s59, s18
	s_add_i32 s58, s24, s5
	s_mul_i32 s4, s4, s18
	v_cndmask_b32_e64 v3, 1, 2, s[2:3]
	s_add_i32 s58, s58, s4
	s_mul_i32 s4, s41, s21
	s_mul_hi_u32 s5, s41, s20
	v_add_co_u32_e32 v10, vcc, v3, v8
	s_add_i32 s60, s5, s4
	s_mul_i32 s4, s46, s20
	v_addc_co_u32_e32 v11, vcc, 0, v9, vcc
	s_mul_i32 s59, s59, s18
	s_add_i32 s60, s60, s4
	s_mul_i32 s61, s41, s20
	v_cmp_lt_u64_e32 vcc, 1, v[10:11]
	s_mov_b64 s[2:3], 0
	s_mul_i32 s62, s22, s47
	s_mul_hi_u32 s63, s22, s40
	s_mul_i32 s64, s23, s40
	s_mul_i32 s65, s22, s40
	s_mul_i32 s67, s6, s46
	s_mul_hi_u32 s68, s6, s41
	s_mul_i32 s69, s7, s41
	s_mul_i32 s66, s6, s41
	;; [unrolled: 4-line block ×3, first 2 shown]
                                        ; implicit-def: $vgpr8_vgpr9
                                        ; implicit-def: $sgpr46_sgpr47
                                        ; implicit-def: $vgpr14_vgpr15
                                        ; implicit-def: $sgpr40_sgpr41
                                        ; implicit-def: $sgpr24_sgpr25
                                        ; implicit-def: $vgpr16_vgpr17
                                        ; implicit-def: $sgpr4_sgpr5
	s_and_saveexec_b64 s[38:39], vcc
	s_xor_b64 s[38:39], exec, s[38:39]
	s_cbranch_execz .LBB31_14
; %bb.9:                                ;   in Loop: Header=BB31_3 Depth=1
	s_lshl_b64 s[4:5], s[8:9], 2
	s_add_u32 s2, s61, s59
	s_addc_u32 s3, s60, s58
	s_add_i32 s24, s63, s62
	s_add_i32 s25, s24, s64
	s_add_u32 s24, s2, s65
	s_addc_u32 s25, s3, s25
	s_add_i32 s2, s68, s67
	s_add_i32 s3, s71, s70
	s_lshl_b64 s[48:49], s[8:9], 3
	s_lshl_b64 s[40:41], s[8:9], 1
	s_add_i32 s2, s2, s69
	s_add_i32 s3, s3, s72
	v_mov_b32_e32 v3, s25
	v_add_co_u32_e32 v8, vcc, s24, v22
	s_add_u32 s46, s66, s73
	v_addc_co_u32_e32 v9, vcc, v23, v3, vcc
	s_addc_u32 s47, s2, s3
	v_and_b32_e32 v12, -2, v10
	v_mov_b32_e32 v13, v11
	v_mov_b32_e32 v3, s47
	v_add_co_u32_e32 v14, vcc, s46, v24
	v_addc_co_u32_e32 v15, vcc, v25, v3, vcc
	s_mov_b64 s[50:51], 0
	v_pk_mov_b32 v[16:17], v[12:13], v[12:13] op_sel:[0,1]
.LBB31_10:                              ;   Parent Loop BB31_3 Depth=1
                                        ; =>  This Inner Loop Header: Depth=2
	global_load_dword v3, v[8:9], off
	v_mov_b32_e32 v20, s5
	v_add_co_u32_e32 v18, vcc, s4, v8
	v_addc_co_u32_e32 v19, vcc, v9, v20, vcc
	global_load_dword v21, v[18:19], off
	v_add_co_u32_e32 v16, vcc, -2, v16
	v_addc_co_u32_e32 v17, vcc, -1, v17, vcc
	v_mov_b32_e32 v19, s41
	v_add_co_u32_e32 v18, vcc, s40, v14
	v_addc_co_u32_e32 v19, vcc, v15, v19, vcc
	v_mov_b32_e32 v27, s49
	v_cmp_eq_u64_e32 vcc, 0, v[16:17]
	v_add_co_u32_e64 v8, s[2:3], s48, v8
	v_addc_co_u32_e64 v9, s[2:3], v9, v27, s[2:3]
	s_or_b64 s[50:51], vcc, s[50:51]
	s_waitcnt vmcnt(1)
	v_and_b32_e32 v27, 0x7f800000, v3
	v_bfe_u32 v28, v3, 16, 1
	v_or_b32_e32 v29, 0x10000, v3
	v_cmp_eq_u32_sdwa vcc, v3, v2 src0_sel:WORD_0 src1_sel:DWORD
	v_add3_u32 v28, v3, v28, s57
	v_cndmask_b32_e32 v3, v29, v3, vcc
	v_cmp_eq_u32_e32 vcc, s56, v27
	s_waitcnt vmcnt(0)
	v_bfe_u32 v29, v21, 16, 1
	v_or_b32_e32 v30, 0x10000, v21
	v_cndmask_b32_e32 v3, v28, v3, vcc
	v_cmp_eq_u32_sdwa vcc, v21, v2 src0_sel:WORD_0 src1_sel:DWORD
	v_and_b32_e32 v27, 0x7f800000, v21
	v_add3_u32 v28, v21, v29, s57
	v_cndmask_b32_e32 v21, v30, v21, vcc
	global_store_short_d16_hi v[14:15], v3, off
	v_add_co_u32_e32 v14, vcc, s4, v14
	v_addc_co_u32_e32 v15, vcc, v15, v20, vcc
	v_cmp_eq_u32_e32 vcc, s56, v27
	v_cndmask_b32_e32 v3, v28, v21, vcc
	global_store_short_d16_hi v[18:19], v3, off
	s_andn2_b64 exec, exec, s[50:51]
	s_cbranch_execnz .LBB31_10
; %bb.11:                               ;   in Loop: Header=BB31_3 Depth=1
	s_or_b64 exec, exec, s[50:51]
	v_cmp_ne_u64_e32 vcc, v[10:11], v[12:13]
	s_mov_b64 s[2:3], 0
                                        ; implicit-def: $vgpr8_vgpr9
                                        ; implicit-def: $vgpr14_vgpr15
                                        ; implicit-def: $vgpr16_vgpr17
	s_and_saveexec_b64 s[48:49], vcc
	s_xor_b64 s[48:49], exec, s[48:49]
; %bb.12:                               ;   in Loop: Header=BB31_3 Depth=1
	v_mad_u64_u32 v[8:9], s[50:51], v12, s8, v[0:1]
	v_mov_b32_e32 v10, v9
	v_mad_u64_u32 v[10:11], s[50:51], v13, s8, v[10:11]
	v_mov_b32_e32 v9, v10
	s_mov_b64 s[2:3], exec
	v_lshlrev_b64 v[14:15], 1, v[8:9]
	v_lshlrev_b64 v[16:17], 2, v[8:9]
; %bb.13:                               ;   in Loop: Header=BB31_3 Depth=1
	s_or_b64 exec, exec, s[48:49]
	s_and_b64 s[2:3], s[2:3], exec
.LBB31_14:                              ;   in Loop: Header=BB31_3 Depth=1
	s_or_saveexec_b64 s[38:39], s[38:39]
	v_pk_mov_b32 v[20:21], s[46:47], s[46:47] op_sel:[0,1]
	v_pk_mov_b32 v[10:11], s[40:41], s[40:41] op_sel:[0,1]
	;; [unrolled: 1-line block ×4, first 2 shown]
	s_xor_b64 exec, exec, s[38:39]
	s_cbranch_execz .LBB31_16
; %bb.15:                               ;   in Loop: Header=BB31_3 Depth=1
	s_add_i32 s4, s68, s67
	s_add_i32 s5, s4, s69
	;; [unrolled: 1-line block ×4, first 2 shown]
	s_add_u32 s4, s66, s73
	s_addc_u32 s5, s5, s24
	s_lshl_b64 s[24:25], s[8:9], 1
	s_add_u32 s40, s61, s59
	s_addc_u32 s41, s60, s58
	s_add_i32 s46, s63, s62
	s_add_i32 s46, s46, s64
	s_add_u32 s40, s40, s65
	s_addc_u32 s41, s41, s46
	s_lshl_b64 s[46:47], s[8:9], 2
	v_pk_mov_b32 v[20:21], s[4:5], s[4:5] op_sel:[0,1]
	v_pk_mov_b32 v[10:11], s[24:25], s[24:25] op_sel:[0,1]
	v_pk_mov_b32 v[18:19], s[40:41], s[40:41] op_sel:[0,1]
	v_pk_mov_b32 v[12:13], s[46:47], s[46:47] op_sel:[0,1]
	s_or_b64 s[2:3], s[2:3], exec
	v_pk_mov_b32 v[8:9], v[0:1], v[0:1] op_sel:[0,1]
	v_pk_mov_b32 v[14:15], v[6:7], v[6:7] op_sel:[0,1]
	;; [unrolled: 1-line block ×3, first 2 shown]
.LBB31_16:                              ;   in Loop: Header=BB31_3 Depth=1
	s_or_b64 exec, exec, s[38:39]
	s_and_b64 exec, exec, s[2:3]
	s_cbranch_execz .LBB31_2
; %bb.17:                               ;   in Loop: Header=BB31_3 Depth=1
	v_add_co_u32_e32 v3, vcc, v20, v14
	v_addc_co_u32_e32 v15, vcc, v21, v15, vcc
	v_mov_b32_e32 v20, s55
	v_add_co_u32_e32 v14, vcc, s54, v3
	v_addc_co_u32_e32 v15, vcc, v20, v15, vcc
	v_add_co_u32_e32 v3, vcc, v18, v16
	v_addc_co_u32_e32 v17, vcc, v19, v17, vcc
	v_mov_b32_e32 v18, s37
	v_add_co_u32_e32 v16, vcc, s36, v3
	v_addc_co_u32_e32 v17, vcc, v18, v17, vcc
	s_mov_b64 s[2:3], 0
	s_branch .LBB31_19
.LBB31_18:                              ;   in Loop: Header=BB31_19 Depth=2
	s_or_b64 exec, exec, s[4:5]
	v_mov_b32_e32 v3, s9
	v_add_co_u32_e32 v8, vcc, s8, v8
	v_addc_co_u32_e32 v9, vcc, v9, v3, vcc
	global_store_short_d16_hi v[14:15], v18, off
	v_add_co_u32_e32 v14, vcc, v14, v10
	v_addc_co_u32_e32 v15, vcc, v15, v11, vcc
	v_cmp_le_i64_e32 vcc, s[42:43], v[8:9]
	s_or_b64 s[2:3], vcc, s[2:3]
	v_add_co_u32_e32 v16, vcc, v16, v12
	v_addc_co_u32_e32 v17, vcc, v17, v13, vcc
	s_andn2_b64 exec, exec, s[2:3]
	s_cbranch_execz .LBB31_2
.LBB31_19:                              ;   Parent Loop BB31_3 Depth=1
                                        ; =>  This Inner Loop Header: Depth=2
	global_load_dword v3, v[16:17], off
	s_waitcnt vmcnt(0)
	v_and_b32_e32 v18, 0x7f800000, v3
	v_cmp_ne_u32_e32 vcc, s56, v18
                                        ; implicit-def: $vgpr18
	s_and_saveexec_b64 s[4:5], vcc
	s_xor_b64 s[4:5], exec, s[4:5]
; %bb.20:                               ;   in Loop: Header=BB31_19 Depth=2
	v_bfe_u32 v18, v3, 16, 1
	v_add3_u32 v18, v3, v18, s57
                                        ; implicit-def: $vgpr3
; %bb.21:                               ;   in Loop: Header=BB31_19 Depth=2
	s_andn2_saveexec_b64 s[4:5], s[4:5]
	s_cbranch_execz .LBB31_18
; %bb.22:                               ;   in Loop: Header=BB31_19 Depth=2
	v_or_b32_e32 v18, 0x10000, v3
	v_cmp_eq_u32_sdwa vcc, v3, v2 src0_sel:WORD_0 src1_sel:DWORD
	v_cndmask_b32_e32 v18, v18, v3, vcc
	s_branch .LBB31_18
.LBB31_23:
	s_endpgm
	.section	.rodata,"a",@progbits
	.p2align	6, 0x0
	.amdhsa_kernel _ZL16k_get_rows_floatIf14__hip_bfloat16EvPKT_PKiPT0_ll15HIP_vector_typeIjLj3EEmmmmmmmmm
		.amdhsa_group_segment_fixed_size 0
		.amdhsa_private_segment_fixed_size 0
		.amdhsa_kernarg_size 384
		.amdhsa_user_sgpr_count 6
		.amdhsa_user_sgpr_private_segment_buffer 1
		.amdhsa_user_sgpr_dispatch_ptr 0
		.amdhsa_user_sgpr_queue_ptr 0
		.amdhsa_user_sgpr_kernarg_segment_ptr 1
		.amdhsa_user_sgpr_dispatch_id 0
		.amdhsa_user_sgpr_flat_scratch_init 0
		.amdhsa_user_sgpr_kernarg_preload_length 0
		.amdhsa_user_sgpr_kernarg_preload_offset 0
		.amdhsa_user_sgpr_private_segment_size 0
		.amdhsa_uses_dynamic_stack 0
		.amdhsa_system_sgpr_private_segment_wavefront_offset 0
		.amdhsa_system_sgpr_workgroup_id_x 1
		.amdhsa_system_sgpr_workgroup_id_y 1
		.amdhsa_system_sgpr_workgroup_id_z 1
		.amdhsa_system_sgpr_workgroup_info 0
		.amdhsa_system_vgpr_workitem_id 0
		.amdhsa_next_free_vgpr 31
		.amdhsa_next_free_sgpr 74
		.amdhsa_accum_offset 32
		.amdhsa_reserve_vcc 1
		.amdhsa_reserve_flat_scratch 0
		.amdhsa_float_round_mode_32 0
		.amdhsa_float_round_mode_16_64 0
		.amdhsa_float_denorm_mode_32 3
		.amdhsa_float_denorm_mode_16_64 3
		.amdhsa_dx10_clamp 1
		.amdhsa_ieee_mode 1
		.amdhsa_fp16_overflow 0
		.amdhsa_tg_split 0
		.amdhsa_exception_fp_ieee_invalid_op 0
		.amdhsa_exception_fp_denorm_src 0
		.amdhsa_exception_fp_ieee_div_zero 0
		.amdhsa_exception_fp_ieee_overflow 0
		.amdhsa_exception_fp_ieee_underflow 0
		.amdhsa_exception_fp_ieee_inexact 0
		.amdhsa_exception_int_div_zero 0
	.end_amdhsa_kernel
	.section	.text._ZL16k_get_rows_floatIf14__hip_bfloat16EvPKT_PKiPT0_ll15HIP_vector_typeIjLj3EEmmmmmmmmm,"axG",@progbits,_ZL16k_get_rows_floatIf14__hip_bfloat16EvPKT_PKiPT0_ll15HIP_vector_typeIjLj3EEmmmmmmmmm,comdat
.Lfunc_end31:
	.size	_ZL16k_get_rows_floatIf14__hip_bfloat16EvPKT_PKiPT0_ll15HIP_vector_typeIjLj3EEmmmmmmmmm, .Lfunc_end31-_ZL16k_get_rows_floatIf14__hip_bfloat16EvPKT_PKiPT0_ll15HIP_vector_typeIjLj3EEmmmmmmmmm
                                        ; -- End function
	.section	.AMDGPU.csdata,"",@progbits
; Kernel info:
; codeLenInByte = 2072
; NumSgprs: 78
; NumVgprs: 31
; NumAgprs: 0
; TotalNumVgprs: 31
; ScratchSize: 0
; MemoryBound: 0
; FloatMode: 240
; IeeeMode: 1
; LDSByteSize: 0 bytes/workgroup (compile time only)
; SGPRBlocks: 9
; VGPRBlocks: 3
; NumSGPRsForWavesPerEU: 78
; NumVGPRsForWavesPerEU: 31
; AccumOffset: 32
; Occupancy: 8
; WaveLimiterHint : 1
; COMPUTE_PGM_RSRC2:SCRATCH_EN: 0
; COMPUTE_PGM_RSRC2:USER_SGPR: 6
; COMPUTE_PGM_RSRC2:TRAP_HANDLER: 0
; COMPUTE_PGM_RSRC2:TGID_X_EN: 1
; COMPUTE_PGM_RSRC2:TGID_Y_EN: 1
; COMPUTE_PGM_RSRC2:TGID_Z_EN: 1
; COMPUTE_PGM_RSRC2:TIDIG_COMP_CNT: 0
; COMPUTE_PGM_RSRC3_GFX90A:ACCUM_OFFSET: 7
; COMPUTE_PGM_RSRC3_GFX90A:TG_SPLIT: 0
	.section	.text._ZL16k_get_rows_floatIi14__hip_bfloat16EvPKT_PKiPT0_ll15HIP_vector_typeIjLj3EEmmmmmmmmm,"axG",@progbits,_ZL16k_get_rows_floatIi14__hip_bfloat16EvPKT_PKiPT0_ll15HIP_vector_typeIjLj3EEmmmmmmmmm,comdat
	.globl	_ZL16k_get_rows_floatIi14__hip_bfloat16EvPKT_PKiPT0_ll15HIP_vector_typeIjLj3EEmmmmmmmmm ; -- Begin function _ZL16k_get_rows_floatIi14__hip_bfloat16EvPKT_PKiPT0_ll15HIP_vector_typeIjLj3EEmmmmmmmmm
	.p2align	8
	.type	_ZL16k_get_rows_floatIi14__hip_bfloat16EvPKT_PKiPT0_ll15HIP_vector_typeIjLj3EEmmmmmmmmm,@function
_ZL16k_get_rows_floatIi14__hip_bfloat16EvPKT_PKiPT0_ll15HIP_vector_typeIjLj3EEmmmmmmmmm: ; @_ZL16k_get_rows_floatIi14__hip_bfloat16EvPKT_PKiPT0_ll15HIP_vector_typeIjLj3EEmmmmmmmmm
; %bb.0:
	s_load_dwordx2 s[0:1], s[4:5], 0x20
	s_load_dwordx2 s[10:11], s[4:5], 0x2c
	s_mov_b32 s9, 0
	v_pk_mov_b32 v[2:3], s[8:9], s[8:9] op_sel:[0,1]
	s_waitcnt lgkmcnt(0)
	s_mul_i32 s1, s11, s1
	s_mul_hi_u32 s2, s11, s0
	s_add_i32 s29, s2, s1
	s_mul_i32 s28, s11, s0
	v_cmp_le_i64_e32 vcc, s[28:29], v[2:3]
	s_cbranch_vccnz .LBB32_23
; %bb.1:
	s_load_dwordx8 s[36:43], s[4:5], 0x0
	s_load_dwordx2 s[30:31], s[4:5], 0x78
	s_load_dwordx2 s[34:35], s[4:5], 0x88
	s_load_dword s33, s[4:5], 0x28
	s_load_dwordx16 s[12:27], s[4:5], 0x38
	s_add_u32 s44, s4, 0x80
	s_addc_u32 s45, s5, 0
	s_ashr_i32 s4, s6, 31
	s_waitcnt lgkmcnt(0)
	s_and_b32 s35, s35, 0xffff
	s_mul_i32 s2, s6, s25
	s_mul_hi_u32 s3, s6, s24
	s_add_i32 s2, s3, s2
	s_mul_i32 s3, s4, s24
	s_add_i32 s3, s2, s3
	s_mul_i32 s2, s6, s24
	s_lshl_b64 s[2:3], s[2:3], 2
	s_add_u32 s52, s38, s2
	s_addc_u32 s53, s39, s3
	s_mul_hi_u32 s2, s12, s6
	s_mul_i32 s3, s12, s4
	s_mul_i32 s7, s7, s35
	v_mov_b32_e32 v2, 0
	s_add_i32 s2, s2, s3
	s_mul_i32 s3, s13, s6
	v_add_u32_e32 v0, s7, v0
	v_mov_b32_e32 v1, v2
	s_add_i32 s3, s2, s3
	s_mul_i32 s2, s12, s6
	v_lshlrev_b64 v[4:5], 2, v[0:1]
	s_lshl_b64 s[2:3], s[2:3], 1
	v_mov_b32_e32 v3, s37
	v_add_co_u32_e32 v22, vcc, s36, v4
	s_add_u32 s54, s40, s2
	v_addc_co_u32_e32 v23, vcc, v3, v5, vcc
	v_lshlrev_b64 v[6:7], 1, v[0:1]
	s_addc_u32 s55, s41, s3
	v_mov_b32_e32 v3, s55
	v_add_co_u32_e32 v24, vcc, s54, v6
	v_cmp_gt_i64_e64 s[0:1], s[42:43], v[0:1]
	v_addc_co_u32_e32 v25, vcc, v3, v7, vcc
	s_lshl_b64 s[6:7], s[14:15], 1
	s_lshl_b64 s[12:13], s[16:17], 1
	s_mov_b32 s56, 0x7f800000
	s_movk_i32 s57, 0x7fff
	v_mov_b32_e32 v26, 0x4f800000
	s_mov_b64 s[14:15], s[8:9]
	s_branch .LBB32_3
.LBB32_2:                               ;   in Loop: Header=BB32_3 Depth=1
	s_or_b64 exec, exec, s[16:17]
	s_add_u32 s14, s14, s34
	s_addc_u32 s15, s15, 0
	v_pk_mov_b32 v[8:9], s[28:29], s[28:29] op_sel:[0,1]
	v_cmp_lt_i64_e32 vcc, s[14:15], v[8:9]
	s_cbranch_vccz .LBB32_23
.LBB32_3:                               ; =>This Loop Header: Depth=1
                                        ;     Child Loop BB32_10 Depth 2
                                        ;     Child Loop BB32_19 Depth 2
	s_and_saveexec_b64 s[16:17], s[0:1]
	s_cbranch_execz .LBB32_2
; %bb.4:                                ;   in Loop: Header=BB32_3 Depth=1
	s_mul_hi_u32 s2, s14, s33
	s_add_i32 s2, s2, s14
	s_lshr_b32 s41, s2, s10
	s_mul_i32 s2, s41, s11
	s_sub_i32 s40, s14, s2
	s_ashr_i32 s46, s41, 31
	s_mul_i32 s2, s41, s27
	s_mul_hi_u32 s3, s41, s26
	s_add_i32 s2, s3, s2
	s_mul_i32 s3, s46, s26
	s_ashr_i32 s47, s40, 31
	s_mul_i32 s4, s40, s31
	s_mul_hi_u32 s5, s40, s30
	s_load_dword s38, s[44:45], 0x4
	s_add_i32 s3, s2, s3
	s_mul_i32 s2, s41, s26
	s_add_i32 s4, s5, s4
	s_mul_i32 s5, s47, s30
	s_add_i32 s5, s4, s5
	s_lshl_b64 s[2:3], s[2:3], 2
	s_mul_i32 s4, s40, s30
	s_add_u32 s8, s52, s2
	s_addc_u32 s25, s53, s3
	s_lshl_b64 s[2:3], s[4:5], 2
	s_add_u32 s24, s8, s2
	s_waitcnt lgkmcnt(0)
	s_mul_i32 s8, s38, s35
	v_add_co_u32_e32 v8, vcc, s8, v0
	s_addc_u32 s25, s25, s3
	v_addc_co_u32_e64 v9, s[2:3], 0, 0, vcc
	v_cmp_gt_i64_e64 s[2:3], s[42:43], v[8:9]
	v_mov_b32_e32 v10, s42
	v_mov_b32_e32 v3, s43
	v_cndmask_b32_e64 v10, v8, v10, s[2:3]
	v_cndmask_b32_e64 v11, 0, 1, s[2:3]
	;; [unrolled: 1-line block ×3, first 2 shown]
	v_sub_co_u32_e32 v10, vcc, v10, v11
	v_subbrev_co_u32_e32 v3, vcc, 0, v3, vcc
	v_sub_co_u32_e32 v10, vcc, v10, v8
	v_subb_co_u32_e32 v3, vcc, v3, v9, vcc
	v_cmp_ne_u64_e32 vcc, 0, v[2:3]
                                        ; implicit-def: $vgpr8_vgpr9
	s_and_saveexec_b64 s[4:5], vcc
	s_xor_b64 s[38:39], exec, s[4:5]
	s_cbranch_execz .LBB32_6
; %bb.5:                                ;   in Loop: Header=BB32_3 Depth=1
	v_cvt_f32_u32_e32 v8, s8
	s_sub_u32 s4, 0, s8
	s_subb_u32 s5, 0, 0
	v_mac_f32_e32 v8, 0, v26
	v_rcp_f32_e32 v8, v8
	v_mul_f32_e32 v8, 0x5f7ffffc, v8
	v_mul_f32_e32 v9, 0x2f800000, v8
	v_trunc_f32_e32 v9, v9
	v_mac_f32_e32 v8, 0xcf800000, v9
	v_cvt_u32_f32_e32 v9, v9
	v_cvt_u32_f32_e32 v8, v8
	v_mul_lo_u32 v11, s4, v9
	v_mul_hi_u32 v13, s4, v8
	v_mul_lo_u32 v12, s5, v8
	v_add_u32_e32 v11, v13, v11
	v_mul_lo_u32 v14, s4, v8
	v_add_u32_e32 v11, v11, v12
	v_mul_hi_u32 v13, v8, v14
	v_mul_lo_u32 v15, v8, v11
	v_mul_hi_u32 v12, v8, v11
	v_add_co_u32_e32 v13, vcc, v13, v15
	v_addc_co_u32_e32 v12, vcc, 0, v12, vcc
	v_mul_hi_u32 v16, v9, v14
	v_mul_lo_u32 v14, v9, v14
	v_add_co_u32_e32 v13, vcc, v13, v14
	v_mul_hi_u32 v15, v9, v11
	v_addc_co_u32_e32 v12, vcc, v12, v16, vcc
	v_addc_co_u32_e32 v13, vcc, 0, v15, vcc
	v_mul_lo_u32 v11, v9, v11
	v_add_co_u32_e32 v11, vcc, v12, v11
	v_addc_co_u32_e32 v12, vcc, 0, v13, vcc
	v_add_co_u32_e32 v8, vcc, v8, v11
	v_addc_co_u32_e32 v9, vcc, v9, v12, vcc
	v_mul_lo_u32 v11, s4, v9
	v_mul_hi_u32 v12, s4, v8
	v_add_u32_e32 v11, v12, v11
	v_mul_lo_u32 v12, s5, v8
	v_add_u32_e32 v11, v11, v12
	v_mul_lo_u32 v13, s4, v8
	v_mul_hi_u32 v14, v9, v13
	v_mul_lo_u32 v15, v9, v13
	v_mul_lo_u32 v17, v8, v11
	v_mul_hi_u32 v13, v8, v13
	v_mul_hi_u32 v16, v8, v11
	v_add_co_u32_e32 v13, vcc, v13, v17
	v_addc_co_u32_e32 v16, vcc, 0, v16, vcc
	v_add_co_u32_e32 v13, vcc, v13, v15
	v_mul_hi_u32 v12, v9, v11
	v_addc_co_u32_e32 v13, vcc, v16, v14, vcc
	v_addc_co_u32_e32 v12, vcc, 0, v12, vcc
	v_mul_lo_u32 v11, v9, v11
	v_add_co_u32_e32 v11, vcc, v13, v11
	v_addc_co_u32_e32 v12, vcc, 0, v12, vcc
	v_add_co_u32_e32 v11, vcc, v8, v11
	v_addc_co_u32_e32 v12, vcc, v9, v12, vcc
	v_mad_u64_u32 v[8:9], s[4:5], v10, v12, 0
	v_mul_hi_u32 v13, v10, v11
	v_add_co_u32_e32 v14, vcc, v13, v8
	v_addc_co_u32_e32 v15, vcc, 0, v9, vcc
	v_mad_u64_u32 v[8:9], s[4:5], v3, v12, 0
	v_mad_u64_u32 v[12:13], s[4:5], v3, v11, 0
	v_add_co_u32_e32 v11, vcc, v14, v12
	v_addc_co_u32_e32 v11, vcc, v15, v13, vcc
	v_addc_co_u32_e32 v9, vcc, 0, v9, vcc
	v_add_co_u32_e32 v11, vcc, v11, v8
	v_addc_co_u32_e32 v14, vcc, 0, v9, vcc
	v_mad_u64_u32 v[8:9], s[4:5], s8, v11, 0
	v_mov_b32_e32 v12, v9
	v_mad_u64_u32 v[12:13], s[4:5], s8, v14, v[12:13]
	v_sub_co_u32_e32 v8, vcc, v10, v8
	v_subb_co_u32_e32 v3, vcc, v3, v12, vcc
	v_subrev_co_u32_e32 v9, vcc, s8, v8
	v_subbrev_co_u32_e32 v10, vcc, 0, v3, vcc
	v_cmp_le_u32_e32 vcc, s8, v9
	v_cndmask_b32_e64 v9, 0, -1, vcc
	v_cmp_eq_u32_e32 vcc, 0, v10
	v_cndmask_b32_e32 v9, -1, v9, vcc
	v_add_co_u32_e32 v10, vcc, 2, v11
	v_addc_co_u32_e32 v12, vcc, 0, v14, vcc
	v_add_co_u32_e32 v13, vcc, 1, v11
	v_cmp_le_u32_e64 s[4:5], s8, v8
	v_addc_co_u32_e32 v15, vcc, 0, v14, vcc
	v_cndmask_b32_e64 v8, 0, -1, s[4:5]
	v_cmp_eq_u32_e64 s[4:5], 0, v3
	v_cmp_ne_u32_e32 vcc, 0, v9
	v_cndmask_b32_e64 v3, -1, v8, s[4:5]
	v_cndmask_b32_e32 v9, v15, v12, vcc
	v_cmp_ne_u32_e64 s[4:5], 0, v3
	v_cndmask_b32_e32 v3, v13, v10, vcc
	v_cndmask_b32_e64 v9, v14, v9, s[4:5]
	v_cndmask_b32_e64 v8, v11, v3, s[4:5]
                                        ; implicit-def: $vgpr10
.LBB32_6:                               ;   in Loop: Header=BB32_3 Depth=1
	s_or_saveexec_b64 s[4:5], s[38:39]
	s_load_dword s59, s[24:25], 0x0
	s_xor_b64 exec, exec, s[4:5]
	s_cbranch_execz .LBB32_8
; %bb.7:                                ;   in Loop: Header=BB32_3 Depth=1
	v_cvt_f32_u32_e32 v3, s8
	s_sub_i32 s24, 0, s8
	v_rcp_iflag_f32_e32 v3, v3
	v_mul_f32_e32 v3, 0x4f7ffffe, v3
	v_cvt_u32_f32_e32 v3, v3
	v_mul_lo_u32 v8, s24, v3
	v_mul_hi_u32 v8, v3, v8
	v_add_u32_e32 v3, v3, v8
	v_mul_hi_u32 v3, v10, v3
	v_mul_lo_u32 v8, v3, s8
	v_sub_u32_e32 v8, v10, v8
	v_add_u32_e32 v9, 1, v3
	v_subrev_u32_e32 v10, s8, v8
	v_cmp_le_u32_e32 vcc, s8, v8
	v_cndmask_b32_e32 v8, v8, v10, vcc
	v_cndmask_b32_e32 v3, v3, v9, vcc
	v_add_u32_e32 v9, 1, v3
	v_cmp_le_u32_e32 vcc, s8, v8
	v_cndmask_b32_e32 v8, v3, v9, vcc
	v_mov_b32_e32 v9, v2
.LBB32_8:                               ;   in Loop: Header=BB32_3 Depth=1
	s_or_b64 exec, exec, s[4:5]
	s_waitcnt lgkmcnt(0)
	s_ashr_i32 s4, s59, 31
	s_mul_i32 s5, s59, s19
	s_mul_hi_u32 s24, s59, s18
	s_add_i32 s58, s24, s5
	s_mul_i32 s4, s4, s18
	v_cndmask_b32_e64 v3, 1, 2, s[2:3]
	s_add_i32 s58, s58, s4
	s_mul_i32 s4, s41, s21
	s_mul_hi_u32 s5, s41, s20
	v_add_co_u32_e32 v10, vcc, v3, v8
	s_add_i32 s60, s5, s4
	s_mul_i32 s4, s46, s20
	v_addc_co_u32_e32 v11, vcc, 0, v9, vcc
	s_mul_i32 s59, s59, s18
	s_add_i32 s60, s60, s4
	s_mul_i32 s61, s41, s20
	v_cmp_lt_u64_e32 vcc, 1, v[10:11]
	s_mov_b64 s[2:3], 0
	s_mul_i32 s62, s22, s47
	s_mul_hi_u32 s63, s22, s40
	s_mul_i32 s64, s23, s40
	s_mul_i32 s65, s22, s40
	s_mul_i32 s67, s6, s46
	s_mul_hi_u32 s68, s6, s41
	s_mul_i32 s69, s7, s41
	s_mul_i32 s66, s6, s41
	;; [unrolled: 4-line block ×3, first 2 shown]
                                        ; implicit-def: $vgpr8_vgpr9
                                        ; implicit-def: $sgpr46_sgpr47
                                        ; implicit-def: $vgpr14_vgpr15
                                        ; implicit-def: $sgpr40_sgpr41
                                        ; implicit-def: $sgpr24_sgpr25
                                        ; implicit-def: $vgpr16_vgpr17
                                        ; implicit-def: $sgpr4_sgpr5
	s_and_saveexec_b64 s[38:39], vcc
	s_xor_b64 s[38:39], exec, s[38:39]
	s_cbranch_execz .LBB32_14
; %bb.9:                                ;   in Loop: Header=BB32_3 Depth=1
	s_lshl_b64 s[4:5], s[8:9], 2
	s_add_u32 s2, s61, s59
	s_addc_u32 s3, s60, s58
	s_add_i32 s24, s63, s62
	s_add_i32 s25, s24, s64
	s_add_u32 s24, s2, s65
	s_addc_u32 s25, s3, s25
	s_add_i32 s2, s68, s67
	s_add_i32 s3, s71, s70
	s_lshl_b64 s[48:49], s[8:9], 3
	s_lshl_b64 s[40:41], s[8:9], 1
	s_add_i32 s2, s2, s69
	s_add_i32 s3, s3, s72
	v_mov_b32_e32 v3, s25
	v_add_co_u32_e32 v8, vcc, s24, v22
	s_add_u32 s46, s66, s73
	v_addc_co_u32_e32 v9, vcc, v23, v3, vcc
	s_addc_u32 s47, s2, s3
	v_and_b32_e32 v12, -2, v10
	v_mov_b32_e32 v13, v11
	v_mov_b32_e32 v3, s47
	v_add_co_u32_e32 v14, vcc, s46, v24
	v_addc_co_u32_e32 v15, vcc, v25, v3, vcc
	s_mov_b64 s[50:51], 0
	v_pk_mov_b32 v[16:17], v[12:13], v[12:13] op_sel:[0,1]
.LBB32_10:                              ;   Parent Loop BB32_3 Depth=1
                                        ; =>  This Inner Loop Header: Depth=2
	v_mov_b32_e32 v3, s5
	global_load_dword v20, v[8:9], off
	v_add_co_u32_e32 v18, vcc, s4, v8
	v_addc_co_u32_e32 v19, vcc, v9, v3, vcc
	global_load_dword v21, v[18:19], off
	v_add_co_u32_e32 v16, vcc, -2, v16
	v_addc_co_u32_e32 v17, vcc, -1, v17, vcc
	v_mov_b32_e32 v19, s41
	v_add_co_u32_e32 v18, vcc, s40, v14
	v_addc_co_u32_e32 v19, vcc, v15, v19, vcc
	v_mov_b32_e32 v27, s49
	v_cmp_eq_u64_e32 vcc, 0, v[16:17]
	v_add_co_u32_e64 v8, s[2:3], s48, v8
	v_addc_co_u32_e64 v9, s[2:3], v9, v27, s[2:3]
	s_or_b64 s[50:51], vcc, s[50:51]
	s_waitcnt vmcnt(1)
	v_cvt_f32_i32_e32 v20, v20
	v_and_b32_e32 v27, 0x7f800000, v20
	s_waitcnt vmcnt(0)
	v_cvt_f32_i32_e32 v21, v21
	v_bfe_u32 v28, v20, 16, 1
	v_or_b32_e32 v29, 0x10000, v20
	v_cmp_eq_u32_sdwa vcc, v20, v2 src0_sel:WORD_0 src1_sel:DWORD
	v_add3_u32 v28, v20, v28, s57
	v_cndmask_b32_e32 v20, v29, v20, vcc
	v_cmp_eq_u32_e32 vcc, s56, v27
	v_bfe_u32 v29, v21, 16, 1
	v_or_b32_e32 v30, 0x10000, v21
	v_cndmask_b32_e32 v20, v28, v20, vcc
	v_cmp_eq_u32_sdwa vcc, v21, v2 src0_sel:WORD_0 src1_sel:DWORD
	v_and_b32_e32 v27, 0x7f800000, v21
	v_add3_u32 v28, v21, v29, s57
	v_cndmask_b32_e32 v21, v30, v21, vcc
	global_store_short_d16_hi v[14:15], v20, off
	v_add_co_u32_e32 v14, vcc, s4, v14
	v_addc_co_u32_e32 v15, vcc, v15, v3, vcc
	v_cmp_eq_u32_e32 vcc, s56, v27
	v_cndmask_b32_e32 v3, v28, v21, vcc
	global_store_short_d16_hi v[18:19], v3, off
	s_andn2_b64 exec, exec, s[50:51]
	s_cbranch_execnz .LBB32_10
; %bb.11:                               ;   in Loop: Header=BB32_3 Depth=1
	s_or_b64 exec, exec, s[50:51]
	v_cmp_ne_u64_e32 vcc, v[10:11], v[12:13]
	s_mov_b64 s[2:3], 0
                                        ; implicit-def: $vgpr8_vgpr9
                                        ; implicit-def: $vgpr14_vgpr15
                                        ; implicit-def: $vgpr16_vgpr17
	s_and_saveexec_b64 s[48:49], vcc
	s_xor_b64 s[48:49], exec, s[48:49]
; %bb.12:                               ;   in Loop: Header=BB32_3 Depth=1
	v_mad_u64_u32 v[8:9], s[50:51], v12, s8, v[0:1]
	v_mov_b32_e32 v10, v9
	v_mad_u64_u32 v[10:11], s[50:51], v13, s8, v[10:11]
	v_mov_b32_e32 v9, v10
	s_mov_b64 s[2:3], exec
	v_lshlrev_b64 v[14:15], 1, v[8:9]
	v_lshlrev_b64 v[16:17], 2, v[8:9]
; %bb.13:                               ;   in Loop: Header=BB32_3 Depth=1
	s_or_b64 exec, exec, s[48:49]
	s_and_b64 s[2:3], s[2:3], exec
.LBB32_14:                              ;   in Loop: Header=BB32_3 Depth=1
	s_or_saveexec_b64 s[38:39], s[38:39]
	v_pk_mov_b32 v[20:21], s[46:47], s[46:47] op_sel:[0,1]
	v_pk_mov_b32 v[10:11], s[40:41], s[40:41] op_sel:[0,1]
	;; [unrolled: 1-line block ×4, first 2 shown]
	s_xor_b64 exec, exec, s[38:39]
	s_cbranch_execz .LBB32_16
; %bb.15:                               ;   in Loop: Header=BB32_3 Depth=1
	s_add_i32 s4, s68, s67
	s_add_i32 s5, s4, s69
	;; [unrolled: 1-line block ×4, first 2 shown]
	s_add_u32 s4, s66, s73
	s_addc_u32 s5, s5, s24
	s_lshl_b64 s[24:25], s[8:9], 1
	s_add_u32 s40, s61, s59
	s_addc_u32 s41, s60, s58
	s_add_i32 s46, s63, s62
	s_add_i32 s46, s46, s64
	s_add_u32 s40, s40, s65
	s_addc_u32 s41, s41, s46
	s_lshl_b64 s[46:47], s[8:9], 2
	v_pk_mov_b32 v[20:21], s[4:5], s[4:5] op_sel:[0,1]
	v_pk_mov_b32 v[10:11], s[24:25], s[24:25] op_sel:[0,1]
	;; [unrolled: 1-line block ×4, first 2 shown]
	s_or_b64 s[2:3], s[2:3], exec
	v_pk_mov_b32 v[8:9], v[0:1], v[0:1] op_sel:[0,1]
	v_pk_mov_b32 v[14:15], v[6:7], v[6:7] op_sel:[0,1]
	;; [unrolled: 1-line block ×3, first 2 shown]
.LBB32_16:                              ;   in Loop: Header=BB32_3 Depth=1
	s_or_b64 exec, exec, s[38:39]
	s_and_b64 exec, exec, s[2:3]
	s_cbranch_execz .LBB32_2
; %bb.17:                               ;   in Loop: Header=BB32_3 Depth=1
	v_add_co_u32_e32 v3, vcc, v20, v14
	v_addc_co_u32_e32 v15, vcc, v21, v15, vcc
	v_mov_b32_e32 v20, s55
	v_add_co_u32_e32 v14, vcc, s54, v3
	v_addc_co_u32_e32 v15, vcc, v20, v15, vcc
	v_add_co_u32_e32 v3, vcc, v18, v16
	v_addc_co_u32_e32 v17, vcc, v19, v17, vcc
	v_mov_b32_e32 v18, s37
	v_add_co_u32_e32 v16, vcc, s36, v3
	v_addc_co_u32_e32 v17, vcc, v18, v17, vcc
	s_mov_b64 s[2:3], 0
	s_branch .LBB32_19
.LBB32_18:                              ;   in Loop: Header=BB32_19 Depth=2
	s_or_b64 exec, exec, s[4:5]
	v_mov_b32_e32 v3, s9
	v_add_co_u32_e32 v8, vcc, s8, v8
	v_addc_co_u32_e32 v9, vcc, v9, v3, vcc
	global_store_short_d16_hi v[14:15], v18, off
	v_add_co_u32_e32 v14, vcc, v14, v10
	v_addc_co_u32_e32 v15, vcc, v15, v11, vcc
	v_cmp_le_i64_e32 vcc, s[42:43], v[8:9]
	s_or_b64 s[2:3], vcc, s[2:3]
	v_add_co_u32_e32 v16, vcc, v16, v12
	v_addc_co_u32_e32 v17, vcc, v17, v13, vcc
	s_andn2_b64 exec, exec, s[2:3]
	s_cbranch_execz .LBB32_2
.LBB32_19:                              ;   Parent Loop BB32_3 Depth=1
                                        ; =>  This Inner Loop Header: Depth=2
	global_load_dword v3, v[16:17], off
	s_waitcnt vmcnt(0)
	v_cvt_f32_i32_e32 v3, v3
	v_and_b32_e32 v18, 0x7f800000, v3
	v_cmp_ne_u32_e32 vcc, s56, v18
                                        ; implicit-def: $vgpr18
	s_and_saveexec_b64 s[4:5], vcc
	s_xor_b64 s[4:5], exec, s[4:5]
; %bb.20:                               ;   in Loop: Header=BB32_19 Depth=2
	v_bfe_u32 v18, v3, 16, 1
	v_add3_u32 v18, v3, v18, s57
                                        ; implicit-def: $vgpr3
; %bb.21:                               ;   in Loop: Header=BB32_19 Depth=2
	s_andn2_saveexec_b64 s[4:5], s[4:5]
	s_cbranch_execz .LBB32_18
; %bb.22:                               ;   in Loop: Header=BB32_19 Depth=2
	v_or_b32_e32 v18, 0x10000, v3
	v_cmp_eq_u32_sdwa vcc, v3, v2 src0_sel:WORD_0 src1_sel:DWORD
	v_cndmask_b32_e32 v18, v18, v3, vcc
	s_branch .LBB32_18
.LBB32_23:
	s_endpgm
	.section	.rodata,"a",@progbits
	.p2align	6, 0x0
	.amdhsa_kernel _ZL16k_get_rows_floatIi14__hip_bfloat16EvPKT_PKiPT0_ll15HIP_vector_typeIjLj3EEmmmmmmmmm
		.amdhsa_group_segment_fixed_size 0
		.amdhsa_private_segment_fixed_size 0
		.amdhsa_kernarg_size 384
		.amdhsa_user_sgpr_count 6
		.amdhsa_user_sgpr_private_segment_buffer 1
		.amdhsa_user_sgpr_dispatch_ptr 0
		.amdhsa_user_sgpr_queue_ptr 0
		.amdhsa_user_sgpr_kernarg_segment_ptr 1
		.amdhsa_user_sgpr_dispatch_id 0
		.amdhsa_user_sgpr_flat_scratch_init 0
		.amdhsa_user_sgpr_kernarg_preload_length 0
		.amdhsa_user_sgpr_kernarg_preload_offset 0
		.amdhsa_user_sgpr_private_segment_size 0
		.amdhsa_uses_dynamic_stack 0
		.amdhsa_system_sgpr_private_segment_wavefront_offset 0
		.amdhsa_system_sgpr_workgroup_id_x 1
		.amdhsa_system_sgpr_workgroup_id_y 1
		.amdhsa_system_sgpr_workgroup_id_z 1
		.amdhsa_system_sgpr_workgroup_info 0
		.amdhsa_system_vgpr_workitem_id 0
		.amdhsa_next_free_vgpr 31
		.amdhsa_next_free_sgpr 74
		.amdhsa_accum_offset 32
		.amdhsa_reserve_vcc 1
		.amdhsa_reserve_flat_scratch 0
		.amdhsa_float_round_mode_32 0
		.amdhsa_float_round_mode_16_64 0
		.amdhsa_float_denorm_mode_32 3
		.amdhsa_float_denorm_mode_16_64 3
		.amdhsa_dx10_clamp 1
		.amdhsa_ieee_mode 1
		.amdhsa_fp16_overflow 0
		.amdhsa_tg_split 0
		.amdhsa_exception_fp_ieee_invalid_op 0
		.amdhsa_exception_fp_denorm_src 0
		.amdhsa_exception_fp_ieee_div_zero 0
		.amdhsa_exception_fp_ieee_overflow 0
		.amdhsa_exception_fp_ieee_underflow 0
		.amdhsa_exception_fp_ieee_inexact 0
		.amdhsa_exception_int_div_zero 0
	.end_amdhsa_kernel
	.section	.text._ZL16k_get_rows_floatIi14__hip_bfloat16EvPKT_PKiPT0_ll15HIP_vector_typeIjLj3EEmmmmmmmmm,"axG",@progbits,_ZL16k_get_rows_floatIi14__hip_bfloat16EvPKT_PKiPT0_ll15HIP_vector_typeIjLj3EEmmmmmmmmm,comdat
.Lfunc_end32:
	.size	_ZL16k_get_rows_floatIi14__hip_bfloat16EvPKT_PKiPT0_ll15HIP_vector_typeIjLj3EEmmmmmmmmm, .Lfunc_end32-_ZL16k_get_rows_floatIi14__hip_bfloat16EvPKT_PKiPT0_ll15HIP_vector_typeIjLj3EEmmmmmmmmm
                                        ; -- End function
	.section	.AMDGPU.csdata,"",@progbits
; Kernel info:
; codeLenInByte = 2084
; NumSgprs: 78
; NumVgprs: 31
; NumAgprs: 0
; TotalNumVgprs: 31
; ScratchSize: 0
; MemoryBound: 0
; FloatMode: 240
; IeeeMode: 1
; LDSByteSize: 0 bytes/workgroup (compile time only)
; SGPRBlocks: 9
; VGPRBlocks: 3
; NumSGPRsForWavesPerEU: 78
; NumVGPRsForWavesPerEU: 31
; AccumOffset: 32
; Occupancy: 8
; WaveLimiterHint : 1
; COMPUTE_PGM_RSRC2:SCRATCH_EN: 0
; COMPUTE_PGM_RSRC2:USER_SGPR: 6
; COMPUTE_PGM_RSRC2:TRAP_HANDLER: 0
; COMPUTE_PGM_RSRC2:TGID_X_EN: 1
; COMPUTE_PGM_RSRC2:TGID_Y_EN: 1
; COMPUTE_PGM_RSRC2:TGID_Z_EN: 1
; COMPUTE_PGM_RSRC2:TIDIG_COMP_CNT: 0
; COMPUTE_PGM_RSRC3_GFX90A:ACCUM_OFFSET: 7
; COMPUTE_PGM_RSRC3_GFX90A:TG_SPLIT: 0
	.section	.text._ZL16k_get_rows_floatI14__hip_bfloat16S0_EvPKT_PKiPT0_ll15HIP_vector_typeIjLj3EEmmmmmmmmm,"axG",@progbits,_ZL16k_get_rows_floatI14__hip_bfloat16S0_EvPKT_PKiPT0_ll15HIP_vector_typeIjLj3EEmmmmmmmmm,comdat
	.globl	_ZL16k_get_rows_floatI14__hip_bfloat16S0_EvPKT_PKiPT0_ll15HIP_vector_typeIjLj3EEmmmmmmmmm ; -- Begin function _ZL16k_get_rows_floatI14__hip_bfloat16S0_EvPKT_PKiPT0_ll15HIP_vector_typeIjLj3EEmmmmmmmmm
	.p2align	8
	.type	_ZL16k_get_rows_floatI14__hip_bfloat16S0_EvPKT_PKiPT0_ll15HIP_vector_typeIjLj3EEmmmmmmmmm,@function
_ZL16k_get_rows_floatI14__hip_bfloat16S0_EvPKT_PKiPT0_ll15HIP_vector_typeIjLj3EEmmmmmmmmm: ; @_ZL16k_get_rows_floatI14__hip_bfloat16S0_EvPKT_PKiPT0_ll15HIP_vector_typeIjLj3EEmmmmmmmmm
; %bb.0:
	s_load_dwordx2 s[0:1], s[4:5], 0x20
	s_load_dwordx2 s[2:3], s[4:5], 0x2c
	s_mov_b32 s9, 0
	v_pk_mov_b32 v[2:3], s[8:9], s[8:9] op_sel:[0,1]
	s_waitcnt lgkmcnt(0)
	s_mul_i32 s1, s3, s1
	s_mul_hi_u32 s10, s3, s0
	s_add_i32 s31, s10, s1
	s_mul_i32 s30, s3, s0
	v_cmp_le_i64_e32 vcc, s[30:31], v[2:3]
	s_cbranch_vccnz .LBB33_6
; %bb.1:
	s_load_dwordx8 s[36:43], s[4:5], 0x0
	s_load_dwordx2 s[10:11], s[4:5], 0x78
	s_load_dwordx2 s[28:29], s[4:5], 0x88
	s_load_dword s33, s[4:5], 0x28
	s_load_dwordx16 s[12:27], s[4:5], 0x38
	s_add_u32 s4, s4, 0x80
	s_addc_u32 s5, s5, 0
	s_waitcnt lgkmcnt(0)
	s_and_b32 s29, s29, 0xffff
	s_mul_i32 s7, s7, s29
	v_add_u32_e32 v0, s7, v0
	s_ashr_i32 s7, s6, 31
	s_mul_i32 s25, s6, s25
	s_mul_hi_u32 s34, s6, s24
	s_add_i32 s25, s34, s25
	s_mul_i32 s34, s7, s24
	s_add_i32 s25, s25, s34
	s_mul_i32 s24, s6, s24
	s_lshl_b64 s[24:25], s[24:25], 2
	s_add_u32 s38, s38, s24
	s_mul_hi_u32 s24, s12, s6
	s_mul_i32 s7, s12, s7
	s_addc_u32 s39, s39, s25
	s_add_i32 s7, s24, s7
	s_mul_i32 s13, s13, s6
	s_add_i32 s7, s7, s13
	s_mul_i32 s6, s12, s6
	s_lshl_b64 s[6:7], s[6:7], 1
	v_mov_b32_e32 v1, 0
	s_add_u32 s6, s40, s6
	v_lshlrev_b64 v[2:3], 1, v[0:1]
	s_addc_u32 s7, s41, s7
	v_mov_b32_e32 v4, s7
	v_add_co_u32_e32 v6, vcc, s6, v2
	v_addc_co_u32_e32 v7, vcc, v4, v3, vcc
	v_mov_b32_e32 v4, s37
	v_add_co_u32_e32 v8, vcc, s36, v2
	v_cmp_gt_i64_e64 s[0:1], s[42:43], v[0:1]
	s_lshl_b64 s[6:7], s[14:15], 1
	s_lshl_b64 s[12:13], s[16:17], 1
	v_addc_co_u32_e32 v9, vcc, v4, v3, vcc
	v_pk_mov_b32 v[2:3], s[30:31], s[30:31] op_sel:[0,1]
	s_mov_b64 s[14:15], s[8:9]
	s_branch .LBB33_3
.LBB33_2:                               ;   in Loop: Header=BB33_3 Depth=1
	s_or_b64 exec, exec, s[16:17]
	s_add_u32 s14, s14, s28
	s_addc_u32 s15, s15, 0
	v_cmp_lt_i64_e32 vcc, s[14:15], v[2:3]
	s_cbranch_vccz .LBB33_6
.LBB33_3:                               ; =>This Loop Header: Depth=1
                                        ;     Child Loop BB33_5 Depth 2
	s_and_saveexec_b64 s[16:17], s[0:1]
	s_cbranch_execz .LBB33_2
; %bb.4:                                ;   in Loop: Header=BB33_3 Depth=1
	s_mul_hi_u32 s8, s14, s33
	s_add_i32 s8, s8, s14
	s_lshr_b32 s34, s8, s2
	s_mul_i32 s8, s34, s3
	s_sub_i32 s35, s14, s8
	s_ashr_i32 s36, s34, 31
	s_mul_i32 s8, s34, s27
	s_mul_hi_u32 s24, s34, s26
	s_add_i32 s8, s24, s8
	s_mul_i32 s24, s36, s26
	s_add_i32 s25, s8, s24
	s_ashr_i32 s37, s35, 31
	s_mul_i32 s8, s35, s11
	s_mul_hi_u32 s30, s35, s10
	s_mul_i32 s24, s34, s26
	s_add_i32 s8, s30, s8
	s_mul_i32 s30, s37, s10
	s_add_i32 s31, s8, s30
	s_lshl_b64 s[24:25], s[24:25], 2
	s_mul_i32 s30, s35, s10
	s_add_u32 s8, s38, s24
	s_addc_u32 s40, s39, s25
	s_lshl_b64 s[24:25], s[30:31], 2
	s_add_u32 s24, s8, s24
	s_addc_u32 s25, s40, s25
	s_load_dword s8, s[24:25], 0x0
	s_mul_i32 s41, s34, s20
	v_mov_b32_e32 v14, s9
	s_waitcnt lgkmcnt(0)
	s_ashr_i32 s24, s8, 31
	s_mul_i32 s25, s8, s19
	s_mul_hi_u32 s30, s8, s18
	s_add_i32 s25, s30, s25
	s_mul_i32 s24, s24, s18
	s_add_i32 s30, s25, s24
	s_load_dword s25, s[4:5], 0x4
	s_mul_i32 s31, s8, s18
	s_mul_i32 s8, s34, s21
	s_mul_hi_u32 s24, s34, s20
	s_add_i32 s8, s24, s8
	s_mul_i32 s24, s36, s20
	s_add_i32 s40, s8, s24
	s_waitcnt lgkmcnt(0)
	s_mul_i32 s8, s25, s29
	s_mul_i32 s24, s6, s36
	s_mul_hi_u32 s25, s6, s34
	s_add_i32 s24, s25, s24
	s_mul_i32 s25, s7, s34
	s_add_i32 s24, s24, s25
	s_mul_i32 s25, s6, s34
	s_mul_i32 s34, s12, s37
	s_mul_hi_u32 s36, s12, s35
	s_add_i32 s34, s36, s34
	s_mul_i32 s36, s13, s35
	s_add_i32 s34, s34, s36
	s_mul_i32 s36, s12, s35
	s_add_u32 s25, s25, s36
	s_addc_u32 s24, s24, s34
	v_mov_b32_e32 v4, s24
	v_add_co_u32_e32 v10, vcc, s25, v6
	s_lshl_b64 s[24:25], s[8:9], 1
	s_add_u32 s31, s41, s31
	s_mul_i32 s34, s22, s37
	s_mul_hi_u32 s36, s22, s35
	s_addc_u32 s30, s40, s30
	s_add_i32 s34, s36, s34
	s_mul_i32 s36, s23, s35
	s_add_i32 s34, s34, s36
	s_mul_i32 s35, s22, s35
	s_add_u32 s31, s31, s35
	v_addc_co_u32_e32 v11, vcc, v7, v4, vcc
	s_addc_u32 s30, s30, s34
	v_mov_b32_e32 v4, s30
	v_add_co_u32_e32 v12, vcc, s31, v8
	v_addc_co_u32_e32 v13, vcc, v9, v4, vcc
	s_mov_b64 s[30:31], 0
	s_mov_b64 s[34:35], 0
	v_pk_mov_b32 v[4:5], v[0:1], v[0:1] op_sel:[0,1]
.LBB33_5:                               ;   Parent Loop BB33_3 Depth=1
                                        ; =>  This Inner Loop Header: Depth=2
	v_mov_b32_e32 v15, s35
	v_add_co_u32_e32 v16, vcc, s34, v12
	v_addc_co_u32_e32 v17, vcc, v13, v15, vcc
	global_load_ushort v18, v[16:17], off
	v_add_co_u32_e32 v4, vcc, s8, v4
	v_addc_co_u32_e32 v5, vcc, v5, v14, vcc
	v_add_co_u32_e32 v16, vcc, s34, v10
	s_add_u32 s34, s34, s24
	v_addc_co_u32_e32 v17, vcc, v11, v15, vcc
	s_addc_u32 s35, s35, s25
	v_cmp_le_i64_e32 vcc, s[42:43], v[4:5]
	s_or_b64 s[30:31], vcc, s[30:31]
	s_waitcnt vmcnt(0)
	global_store_short v[16:17], v18, off
	s_andn2_b64 exec, exec, s[30:31]
	s_cbranch_execnz .LBB33_5
	s_branch .LBB33_2
.LBB33_6:
	s_endpgm
	.section	.rodata,"a",@progbits
	.p2align	6, 0x0
	.amdhsa_kernel _ZL16k_get_rows_floatI14__hip_bfloat16S0_EvPKT_PKiPT0_ll15HIP_vector_typeIjLj3EEmmmmmmmmm
		.amdhsa_group_segment_fixed_size 0
		.amdhsa_private_segment_fixed_size 0
		.amdhsa_kernarg_size 384
		.amdhsa_user_sgpr_count 6
		.amdhsa_user_sgpr_private_segment_buffer 1
		.amdhsa_user_sgpr_dispatch_ptr 0
		.amdhsa_user_sgpr_queue_ptr 0
		.amdhsa_user_sgpr_kernarg_segment_ptr 1
		.amdhsa_user_sgpr_dispatch_id 0
		.amdhsa_user_sgpr_flat_scratch_init 0
		.amdhsa_user_sgpr_kernarg_preload_length 0
		.amdhsa_user_sgpr_kernarg_preload_offset 0
		.amdhsa_user_sgpr_private_segment_size 0
		.amdhsa_uses_dynamic_stack 0
		.amdhsa_system_sgpr_private_segment_wavefront_offset 0
		.amdhsa_system_sgpr_workgroup_id_x 1
		.amdhsa_system_sgpr_workgroup_id_y 1
		.amdhsa_system_sgpr_workgroup_id_z 1
		.amdhsa_system_sgpr_workgroup_info 0
		.amdhsa_system_vgpr_workitem_id 0
		.amdhsa_next_free_vgpr 19
		.amdhsa_next_free_sgpr 44
		.amdhsa_accum_offset 20
		.amdhsa_reserve_vcc 1
		.amdhsa_reserve_flat_scratch 0
		.amdhsa_float_round_mode_32 0
		.amdhsa_float_round_mode_16_64 0
		.amdhsa_float_denorm_mode_32 3
		.amdhsa_float_denorm_mode_16_64 3
		.amdhsa_dx10_clamp 1
		.amdhsa_ieee_mode 1
		.amdhsa_fp16_overflow 0
		.amdhsa_tg_split 0
		.amdhsa_exception_fp_ieee_invalid_op 0
		.amdhsa_exception_fp_denorm_src 0
		.amdhsa_exception_fp_ieee_div_zero 0
		.amdhsa_exception_fp_ieee_overflow 0
		.amdhsa_exception_fp_ieee_underflow 0
		.amdhsa_exception_fp_ieee_inexact 0
		.amdhsa_exception_int_div_zero 0
	.end_amdhsa_kernel
	.section	.text._ZL16k_get_rows_floatI14__hip_bfloat16S0_EvPKT_PKiPT0_ll15HIP_vector_typeIjLj3EEmmmmmmmmm,"axG",@progbits,_ZL16k_get_rows_floatI14__hip_bfloat16S0_EvPKT_PKiPT0_ll15HIP_vector_typeIjLj3EEmmmmmmmmm,comdat
.Lfunc_end33:
	.size	_ZL16k_get_rows_floatI14__hip_bfloat16S0_EvPKT_PKiPT0_ll15HIP_vector_typeIjLj3EEmmmmmmmmm, .Lfunc_end33-_ZL16k_get_rows_floatI14__hip_bfloat16S0_EvPKT_PKiPT0_ll15HIP_vector_typeIjLj3EEmmmmmmmmm
                                        ; -- End function
	.section	.AMDGPU.csdata,"",@progbits
; Kernel info:
; codeLenInByte = 704
; NumSgprs: 48
; NumVgprs: 19
; NumAgprs: 0
; TotalNumVgprs: 19
; ScratchSize: 0
; MemoryBound: 0
; FloatMode: 240
; IeeeMode: 1
; LDSByteSize: 0 bytes/workgroup (compile time only)
; SGPRBlocks: 5
; VGPRBlocks: 2
; NumSGPRsForWavesPerEU: 48
; NumVGPRsForWavesPerEU: 19
; AccumOffset: 20
; Occupancy: 8
; WaveLimiterHint : 1
; COMPUTE_PGM_RSRC2:SCRATCH_EN: 0
; COMPUTE_PGM_RSRC2:USER_SGPR: 6
; COMPUTE_PGM_RSRC2:TRAP_HANDLER: 0
; COMPUTE_PGM_RSRC2:TGID_X_EN: 1
; COMPUTE_PGM_RSRC2:TGID_Y_EN: 1
; COMPUTE_PGM_RSRC2:TGID_Z_EN: 1
; COMPUTE_PGM_RSRC2:TIDIG_COMP_CNT: 0
; COMPUTE_PGM_RSRC3_GFX90A:ACCUM_OFFSET: 4
; COMPUTE_PGM_RSRC3_GFX90A:TG_SPLIT: 0
	.section	.text._ZL10k_get_rowsILi128ELi1EXadL_ZL15dequantize_q1_0PKvliR15HIP_vector_typeIfLj2EEEE14__hip_bfloat16EvS1_PKiPT2_llS2_IjLj3EEmmmmmmmmm,"axG",@progbits,_ZL10k_get_rowsILi128ELi1EXadL_ZL15dequantize_q1_0PKvliR15HIP_vector_typeIfLj2EEEE14__hip_bfloat16EvS1_PKiPT2_llS2_IjLj3EEmmmmmmmmm,comdat
	.globl	_ZL10k_get_rowsILi128ELi1EXadL_ZL15dequantize_q1_0PKvliR15HIP_vector_typeIfLj2EEEE14__hip_bfloat16EvS1_PKiPT2_llS2_IjLj3EEmmmmmmmmm ; -- Begin function _ZL10k_get_rowsILi128ELi1EXadL_ZL15dequantize_q1_0PKvliR15HIP_vector_typeIfLj2EEEE14__hip_bfloat16EvS1_PKiPT2_llS2_IjLj3EEmmmmmmmmm
	.p2align	8
	.type	_ZL10k_get_rowsILi128ELi1EXadL_ZL15dequantize_q1_0PKvliR15HIP_vector_typeIfLj2EEEE14__hip_bfloat16EvS1_PKiPT2_llS2_IjLj3EEmmmmmmmmm,@function
_ZL10k_get_rowsILi128ELi1EXadL_ZL15dequantize_q1_0PKvliR15HIP_vector_typeIfLj2EEEE14__hip_bfloat16EvS1_PKiPT2_llS2_IjLj3EEmmmmmmmmm: ; @_ZL10k_get_rowsILi128ELi1EXadL_ZL15dequantize_q1_0PKvliR15HIP_vector_typeIfLj2EEEE14__hip_bfloat16EvS1_PKiPT2_llS2_IjLj3EEmmmmmmmmm
; %bb.0:
	s_load_dwordx4 s[28:31], s[4:5], 0x18
	s_load_dwordx2 s[2:3], s[4:5], 0x2c
	s_mov_b32 s9, 0
	v_pk_mov_b32 v[2:3], s[8:9], s[8:9] op_sel:[0,1]
	s_waitcnt lgkmcnt(0)
	s_mul_i32 s0, s3, s31
	s_mul_hi_u32 s1, s3, s30
	s_add_i32 s35, s1, s0
	s_mul_i32 s34, s3, s30
	v_cmp_le_i64_e32 vcc, s[34:35], v[2:3]
	s_cbranch_vccnz .LBB34_14
; %bb.1:
	s_load_dwordx4 s[36:39], s[4:5], 0x0
	s_load_dwordx2 s[40:41], s[4:5], 0x10
	s_load_dwordx2 s[10:11], s[4:5], 0x78
	s_load_dwordx2 s[30:31], s[4:5], 0x88
	s_load_dword s33, s[4:5], 0x28
	s_load_dwordx16 s[12:27], s[4:5], 0x38
	s_add_u32 s4, s4, 0x80
	s_addc_u32 s5, s5, 0
	s_waitcnt lgkmcnt(0)
	s_and_b32 s31, s31, 0xffff
	s_mul_i32 s7, s7, s31
	v_add_lshl_u32 v0, s7, v0, 1
	s_ashr_i32 s7, s6, 31
	s_mul_i32 s25, s6, s25
	s_mul_hi_u32 s42, s6, s24
	s_add_i32 s25, s42, s25
	s_mul_i32 s42, s7, s24
	s_add_i32 s25, s25, s42
	s_mul_i32 s24, s6, s24
	s_lshl_b64 s[24:25], s[24:25], 2
	s_add_u32 s42, s38, s24
	s_mul_i32 s13, s6, s13
	s_mul_hi_u32 s24, s6, s12
	s_addc_u32 s43, s39, s25
	s_add_i32 s13, s24, s13
	s_mul_i32 s7, s7, s12
	s_add_i32 s7, s13, s7
	s_mul_i32 s6, s6, s12
	s_lshl_b64 s[6:7], s[6:7], 1
	v_mov_b32_e32 v1, 0
	s_add_u32 s44, s40, s6
	v_cmp_gt_i64_e64 s[0:1], s[28:29], v[0:1]
	s_addc_u32 s45, s41, s7
	v_lshlrev_b64 v[2:3], 25, v[0:1]
	v_mov_b32_e32 v4, v1
	v_mov_b32_e32 v5, v0
	s_mov_b32 s46, 0x7f800000
	s_movk_i32 s47, 0x7fff
	v_pk_mov_b32 v[6:7], s[34:35], s[34:35] op_sel:[0,1]
	s_mov_b64 s[6:7], s[8:9]
	s_branch .LBB34_3
.LBB34_2:                               ;   in Loop: Header=BB34_3 Depth=1
	s_or_b64 exec, exec, s[12:13]
	s_add_u32 s6, s6, s30
	s_addc_u32 s7, s7, 0
	v_cmp_ge_i64_e32 vcc, s[6:7], v[6:7]
	s_cbranch_vccnz .LBB34_14
.LBB34_3:                               ; =>This Loop Header: Depth=1
                                        ;     Child Loop BB34_6 Depth 2
	s_and_saveexec_b64 s[12:13], s[0:1]
	s_cbranch_execz .LBB34_2
; %bb.4:                                ;   in Loop: Header=BB34_3 Depth=1
	s_mul_hi_u32 s8, s6, s33
	s_add_i32 s8, s8, s6
	s_lshr_b32 s8, s8, s2
	s_mul_i32 s24, s8, s3
	s_sub_i32 s38, s6, s24
	s_ashr_i32 s39, s8, 31
	s_mul_i32 s24, s8, s27
	s_mul_hi_u32 s25, s8, s26
	s_add_i32 s24, s25, s24
	s_mul_i32 s25, s39, s26
	s_ashr_i32 s40, s38, 31
	s_mul_i32 s34, s38, s11
	s_mul_hi_u32 s35, s38, s10
	s_add_i32 s25, s24, s25
	s_mul_i32 s24, s8, s26
	s_add_i32 s34, s35, s34
	s_mul_i32 s35, s40, s10
	s_add_i32 s35, s34, s35
	s_lshl_b64 s[24:25], s[24:25], 2
	s_mul_i32 s34, s38, s10
	s_add_u32 s41, s42, s24
	s_addc_u32 s48, s43, s25
	s_lshl_b64 s[24:25], s[34:35], 2
	s_add_u32 s24, s41, s24
	s_addc_u32 s25, s48, s25
	s_load_dword s34, s[24:25], 0x0
	s_mul_i32 s24, s8, s15
	s_mul_hi_u32 s25, s8, s14
	s_add_i32 s24, s25, s24
	s_mul_i32 s25, s39, s14
	s_add_i32 s25, s24, s25
	s_mul_i32 s24, s8, s14
	s_waitcnt lgkmcnt(0)
	s_ashr_i32 s35, s34, 31
	s_lshl_b64 s[24:25], s[24:25], 1
	s_add_u32 s41, s44, s24
	s_addc_u32 s49, s45, s25
	s_mul_i32 s24, s38, s17
	s_mul_hi_u32 s25, s38, s16
	s_add_i32 s24, s25, s24
	s_mul_i32 s25, s40, s16
	s_add_i32 s25, s24, s25
	s_mul_i32 s24, s38, s16
	s_lshl_b64 s[24:25], s[24:25], 1
	s_add_u32 s48, s41, s24
	s_addc_u32 s41, s49, s25
	s_mul_i32 s24, s34, s19
	s_mul_hi_u32 s25, s34, s18
	s_add_i32 s24, s25, s24
	s_mul_i32 s35, s35, s18
	s_add_i32 s24, s24, s35
	s_mul_i32 s34, s34, s18
	s_add_u32 s25, s36, s34
	s_mul_i32 s34, s8, s21
	s_mul_hi_u32 s35, s8, s20
	s_addc_u32 s24, s37, s24
	s_add_i32 s34, s35, s34
	s_mul_i32 s39, s39, s20
	s_add_i32 s34, s34, s39
	s_mul_i32 s8, s8, s20
	s_add_u32 s8, s25, s8
	s_addc_u32 s25, s24, s34
	s_mul_i32 s24, s38, s23
	s_mul_hi_u32 s34, s38, s22
	s_add_i32 s24, s34, s24
	s_load_dword s34, s[4:5], 0x4
	s_mul_i32 s40, s40, s22
	s_add_i32 s35, s24, s40
	s_mul_i32 s38, s38, s22
	s_add_u32 s24, s8, s38
	s_waitcnt lgkmcnt(0)
	s_mul_i32 s8, s34, s31
	s_addc_u32 s25, s25, s35
	s_lshl_b64 s[34:35], s[8:9], 25
	s_mov_b64 s[38:39], 0
	v_mov_b32_e32 v16, s41
	v_mov_b32_e32 v17, s9
	;; [unrolled: 1-line block ×4, first 2 shown]
	v_pk_mov_b32 v[8:9], v[4:5], v[4:5] op_sel:[0,1]
	v_pk_mov_b32 v[10:11], v[2:3], v[2:3] op_sel:[0,1]
	;; [unrolled: 1-line block ×3, first 2 shown]
	s_branch .LBB34_6
.LBB34_5:                               ;   in Loop: Header=BB34_6 Depth=2
	s_or_b64 exec, exec, s[40:41]
	v_add_co_u32_e32 v12, vcc, s8, v12
	v_addc_co_u32_e32 v13, vcc, v13, v17, vcc
	v_add_co_u32_e32 v10, vcc, s34, v10
	v_addc_co_u32_e32 v11, vcc, v11, v18, vcc
	v_cmp_le_i64_e32 vcc, s[28:29], v[12:13]
	s_or_b64 s[38:39], vcc, s[38:39]
	v_add_co_u32_e32 v8, vcc, 0, v8
	v_addc_co_u32_e32 v9, vcc, v9, v19, vcc
	global_store_short_d16_hi v[14:15], v21, off offset:2
	s_andn2_b64 exec, exec, s[38:39]
	s_cbranch_execz .LBB34_2
.LBB34_6:                               ;   Parent Loop BB34_3 Depth=1
                                        ; =>  This Inner Loop Header: Depth=2
	v_mad_i64_i32 v[20:21], s[40:41], v11, 18, s[24:25]
	v_bfe_u32 v14, v12, 3, 4
	v_add_co_u32_e32 v14, vcc, v20, v14
	v_addc_co_u32_e32 v15, vcc, 0, v21, vcc
	global_load_ushort v22, v[20:21], off
	global_load_ubyte v23, v[14:15], off offset:2
	v_and_b32_e32 v14, 0x7f, v12
	v_add_u32_e32 v14, 1, v14
	v_lshrrev_b32_e32 v15, 3, v14
	v_add_co_u32_e32 v20, vcc, v20, v15
	v_addc_co_u32_e32 v21, vcc, 0, v21, vcc
	global_load_ubyte v20, v[20:21], off offset:2
	v_and_b32_e32 v21, 7, v12
	s_waitcnt vmcnt(2)
	v_cvt_f32_f16_e32 v15, v22
	s_waitcnt vmcnt(1)
	v_lshrrev_b32_e32 v21, v21, v23
	v_lshlrev_b32_e32 v21, 1, v21
	v_and_b32_e32 v21, 2, v21
	v_add_u32_e32 v21, -1, v21
	v_cvt_f32_i32_e32 v21, v21
	v_mul_f32_e32 v22, v15, v21
	v_and_b32_e32 v21, 0x7f800000, v22
	v_cmp_ne_u32_e32 vcc, s46, v21
                                        ; implicit-def: $vgpr21
	s_and_saveexec_b64 s[40:41], vcc
	s_xor_b64 s[40:41], exec, s[40:41]
; %bb.7:                                ;   in Loop: Header=BB34_6 Depth=2
	v_bfe_u32 v21, v22, 16, 1
	v_add3_u32 v21, v22, v21, s47
                                        ; implicit-def: $vgpr22
; %bb.8:                                ;   in Loop: Header=BB34_6 Depth=2
	s_andn2_saveexec_b64 s[40:41], s[40:41]
; %bb.9:                                ;   in Loop: Header=BB34_6 Depth=2
	v_or_b32_e32 v21, 0x10000, v22
	v_cmp_eq_u32_sdwa vcc, v22, v1 src0_sel:WORD_0 src1_sel:DWORD
	v_cndmask_b32_e32 v21, v21, v22, vcc
; %bb.10:                               ;   in Loop: Header=BB34_6 Depth=2
	s_or_b64 exec, exec, s[40:41]
	v_and_b32_e32 v14, 7, v14
	s_waitcnt vmcnt(0)
	v_lshrrev_b32_sdwa v14, v14, v20 dst_sel:DWORD dst_unused:UNUSED_PAD src0_sel:DWORD src1_sel:BYTE_0
	v_lshlrev_b32_e32 v14, 1, v14
	v_and_b32_e32 v14, 2, v14
	v_add_u32_e32 v14, -1, v14
	v_cvt_f32_i32_e32 v14, v14
	v_ashrrev_i64 v[22:23], 31, v[8:9]
	v_mul_f32_e32 v20, v15, v14
	v_add_co_u32_e32 v14, vcc, s48, v22
	v_addc_co_u32_e32 v15, vcc, v16, v23, vcc
	global_store_short_d16_hi v[14:15], v21, off
	v_and_b32_e32 v21, 0x7f800000, v20
	v_cmp_ne_u32_e32 vcc, s46, v21
                                        ; implicit-def: $vgpr21
	s_and_saveexec_b64 s[40:41], vcc
	s_xor_b64 s[40:41], exec, s[40:41]
; %bb.11:                               ;   in Loop: Header=BB34_6 Depth=2
	v_bfe_u32 v21, v20, 16, 1
	v_add3_u32 v21, v20, v21, s47
                                        ; implicit-def: $vgpr20
; %bb.12:                               ;   in Loop: Header=BB34_6 Depth=2
	s_andn2_saveexec_b64 s[40:41], s[40:41]
	s_cbranch_execz .LBB34_5
; %bb.13:                               ;   in Loop: Header=BB34_6 Depth=2
	v_or_b32_e32 v21, 0x10000, v20
	v_cmp_eq_u32_sdwa vcc, v20, v1 src0_sel:WORD_0 src1_sel:DWORD
	v_cndmask_b32_e32 v21, v21, v20, vcc
	s_branch .LBB34_5
.LBB34_14:
	s_endpgm
	.section	.rodata,"a",@progbits
	.p2align	6, 0x0
	.amdhsa_kernel _ZL10k_get_rowsILi128ELi1EXadL_ZL15dequantize_q1_0PKvliR15HIP_vector_typeIfLj2EEEE14__hip_bfloat16EvS1_PKiPT2_llS2_IjLj3EEmmmmmmmmm
		.amdhsa_group_segment_fixed_size 0
		.amdhsa_private_segment_fixed_size 0
		.amdhsa_kernarg_size 384
		.amdhsa_user_sgpr_count 6
		.amdhsa_user_sgpr_private_segment_buffer 1
		.amdhsa_user_sgpr_dispatch_ptr 0
		.amdhsa_user_sgpr_queue_ptr 0
		.amdhsa_user_sgpr_kernarg_segment_ptr 1
		.amdhsa_user_sgpr_dispatch_id 0
		.amdhsa_user_sgpr_flat_scratch_init 0
		.amdhsa_user_sgpr_kernarg_preload_length 0
		.amdhsa_user_sgpr_kernarg_preload_offset 0
		.amdhsa_user_sgpr_private_segment_size 0
		.amdhsa_uses_dynamic_stack 0
		.amdhsa_system_sgpr_private_segment_wavefront_offset 0
		.amdhsa_system_sgpr_workgroup_id_x 1
		.amdhsa_system_sgpr_workgroup_id_y 1
		.amdhsa_system_sgpr_workgroup_id_z 1
		.amdhsa_system_sgpr_workgroup_info 0
		.amdhsa_system_vgpr_workitem_id 0
		.amdhsa_next_free_vgpr 24
		.amdhsa_next_free_sgpr 50
		.amdhsa_accum_offset 24
		.amdhsa_reserve_vcc 1
		.amdhsa_reserve_flat_scratch 0
		.amdhsa_float_round_mode_32 0
		.amdhsa_float_round_mode_16_64 0
		.amdhsa_float_denorm_mode_32 3
		.amdhsa_float_denorm_mode_16_64 3
		.amdhsa_dx10_clamp 1
		.amdhsa_ieee_mode 1
		.amdhsa_fp16_overflow 0
		.amdhsa_tg_split 0
		.amdhsa_exception_fp_ieee_invalid_op 0
		.amdhsa_exception_fp_denorm_src 0
		.amdhsa_exception_fp_ieee_div_zero 0
		.amdhsa_exception_fp_ieee_overflow 0
		.amdhsa_exception_fp_ieee_underflow 0
		.amdhsa_exception_fp_ieee_inexact 0
		.amdhsa_exception_int_div_zero 0
	.end_amdhsa_kernel
	.section	.text._ZL10k_get_rowsILi128ELi1EXadL_ZL15dequantize_q1_0PKvliR15HIP_vector_typeIfLj2EEEE14__hip_bfloat16EvS1_PKiPT2_llS2_IjLj3EEmmmmmmmmm,"axG",@progbits,_ZL10k_get_rowsILi128ELi1EXadL_ZL15dequantize_q1_0PKvliR15HIP_vector_typeIfLj2EEEE14__hip_bfloat16EvS1_PKiPT2_llS2_IjLj3EEmmmmmmmmm,comdat
.Lfunc_end34:
	.size	_ZL10k_get_rowsILi128ELi1EXadL_ZL15dequantize_q1_0PKvliR15HIP_vector_typeIfLj2EEEE14__hip_bfloat16EvS1_PKiPT2_llS2_IjLj3EEmmmmmmmmm, .Lfunc_end34-_ZL10k_get_rowsILi128ELi1EXadL_ZL15dequantize_q1_0PKvliR15HIP_vector_typeIfLj2EEEE14__hip_bfloat16EvS1_PKiPT2_llS2_IjLj3EEmmmmmmmmm
                                        ; -- End function
	.section	.AMDGPU.csdata,"",@progbits
; Kernel info:
; codeLenInByte = 1012
; NumSgprs: 54
; NumVgprs: 24
; NumAgprs: 0
; TotalNumVgprs: 24
; ScratchSize: 0
; MemoryBound: 0
; FloatMode: 240
; IeeeMode: 1
; LDSByteSize: 0 bytes/workgroup (compile time only)
; SGPRBlocks: 6
; VGPRBlocks: 2
; NumSGPRsForWavesPerEU: 54
; NumVGPRsForWavesPerEU: 24
; AccumOffset: 24
; Occupancy: 8
; WaveLimiterHint : 1
; COMPUTE_PGM_RSRC2:SCRATCH_EN: 0
; COMPUTE_PGM_RSRC2:USER_SGPR: 6
; COMPUTE_PGM_RSRC2:TRAP_HANDLER: 0
; COMPUTE_PGM_RSRC2:TGID_X_EN: 1
; COMPUTE_PGM_RSRC2:TGID_Y_EN: 1
; COMPUTE_PGM_RSRC2:TGID_Z_EN: 1
; COMPUTE_PGM_RSRC2:TIDIG_COMP_CNT: 0
; COMPUTE_PGM_RSRC3_GFX90A:ACCUM_OFFSET: 5
; COMPUTE_PGM_RSRC3_GFX90A:TG_SPLIT: 0
	.section	.text._ZL10k_get_rowsILi32ELi2EXadL_ZL15dequantize_q4_0PKvliR15HIP_vector_typeIfLj2EEEE14__hip_bfloat16EvS1_PKiPT2_llS2_IjLj3EEmmmmmmmmm,"axG",@progbits,_ZL10k_get_rowsILi32ELi2EXadL_ZL15dequantize_q4_0PKvliR15HIP_vector_typeIfLj2EEEE14__hip_bfloat16EvS1_PKiPT2_llS2_IjLj3EEmmmmmmmmm,comdat
	.globl	_ZL10k_get_rowsILi32ELi2EXadL_ZL15dequantize_q4_0PKvliR15HIP_vector_typeIfLj2EEEE14__hip_bfloat16EvS1_PKiPT2_llS2_IjLj3EEmmmmmmmmm ; -- Begin function _ZL10k_get_rowsILi32ELi2EXadL_ZL15dequantize_q4_0PKvliR15HIP_vector_typeIfLj2EEEE14__hip_bfloat16EvS1_PKiPT2_llS2_IjLj3EEmmmmmmmmm
	.p2align	8
	.type	_ZL10k_get_rowsILi32ELi2EXadL_ZL15dequantize_q4_0PKvliR15HIP_vector_typeIfLj2EEEE14__hip_bfloat16EvS1_PKiPT2_llS2_IjLj3EEmmmmmmmmm,@function
_ZL10k_get_rowsILi32ELi2EXadL_ZL15dequantize_q4_0PKvliR15HIP_vector_typeIfLj2EEEE14__hip_bfloat16EvS1_PKiPT2_llS2_IjLj3EEmmmmmmmmm: ; @_ZL10k_get_rowsILi32ELi2EXadL_ZL15dequantize_q4_0PKvliR15HIP_vector_typeIfLj2EEEE14__hip_bfloat16EvS1_PKiPT2_llS2_IjLj3EEmmmmmmmmm
; %bb.0:
	s_load_dwordx4 s[28:31], s[4:5], 0x18
	s_load_dwordx2 s[2:3], s[4:5], 0x2c
	s_mov_b32 s9, 0
	v_pk_mov_b32 v[2:3], s[8:9], s[8:9] op_sel:[0,1]
	s_waitcnt lgkmcnt(0)
	s_mul_i32 s0, s3, s31
	s_mul_hi_u32 s1, s3, s30
	s_add_i32 s35, s1, s0
	s_mul_i32 s34, s3, s30
	v_cmp_le_i64_e32 vcc, s[34:35], v[2:3]
	s_cbranch_vccnz .LBB35_14
; %bb.1:
	s_load_dwordx4 s[36:39], s[4:5], 0x0
	s_load_dwordx2 s[40:41], s[4:5], 0x10
	s_load_dwordx2 s[10:11], s[4:5], 0x78
	;; [unrolled: 1-line block ×3, first 2 shown]
	s_load_dword s33, s[4:5], 0x28
	s_load_dwordx16 s[12:27], s[4:5], 0x38
	s_add_u32 s4, s4, 0x80
	s_addc_u32 s5, s5, 0
	s_waitcnt lgkmcnt(0)
	s_and_b32 s31, s31, 0xffff
	s_mul_i32 s7, s7, s31
	v_add_lshl_u32 v0, s7, v0, 1
	s_ashr_i32 s7, s6, 31
	s_mul_i32 s25, s6, s25
	s_mul_hi_u32 s42, s6, s24
	s_add_i32 s25, s42, s25
	s_mul_i32 s42, s7, s24
	s_add_i32 s25, s25, s42
	s_mul_i32 s24, s6, s24
	s_lshl_b64 s[24:25], s[24:25], 2
	s_add_u32 s42, s38, s24
	s_mul_i32 s13, s6, s13
	s_mul_hi_u32 s24, s6, s12
	s_addc_u32 s43, s39, s25
	s_add_i32 s13, s24, s13
	s_mul_i32 s7, s7, s12
	s_add_i32 s7, s13, s7
	s_mul_i32 s6, s6, s12
	s_lshl_b64 s[6:7], s[6:7], 1
	v_mov_b32_e32 v1, 0
	s_add_u32 s44, s40, s6
	v_cmp_gt_i64_e64 s[0:1], s[28:29], v[0:1]
	s_addc_u32 s45, s41, s7
	v_lshlrev_b64 v[2:3], 27, v[0:1]
	s_mov_b32 s46, 0x7f800000
	s_movk_i32 s47, 0x7fff
	s_movk_i32 s48, 0xffe0
	v_pk_mov_b32 v[4:5], s[34:35], s[34:35] op_sel:[0,1]
	s_mov_b64 s[6:7], s[8:9]
	s_branch .LBB35_3
.LBB35_2:                               ;   in Loop: Header=BB35_3 Depth=1
	s_or_b64 exec, exec, s[12:13]
	s_add_u32 s6, s6, s30
	s_addc_u32 s7, s7, 0
	v_cmp_ge_i64_e32 vcc, s[6:7], v[4:5]
	s_cbranch_vccnz .LBB35_14
.LBB35_3:                               ; =>This Loop Header: Depth=1
                                        ;     Child Loop BB35_6 Depth 2
	s_and_saveexec_b64 s[12:13], s[0:1]
	s_cbranch_execz .LBB35_2
; %bb.4:                                ;   in Loop: Header=BB35_3 Depth=1
	s_mul_hi_u32 s8, s6, s33
	s_add_i32 s8, s8, s6
	s_lshr_b32 s8, s8, s2
	s_mul_i32 s24, s8, s3
	s_sub_i32 s38, s6, s24
	s_ashr_i32 s39, s8, 31
	s_mul_i32 s24, s8, s27
	s_mul_hi_u32 s25, s8, s26
	s_add_i32 s24, s25, s24
	s_mul_i32 s25, s39, s26
	s_ashr_i32 s40, s38, 31
	s_mul_i32 s34, s38, s11
	s_mul_hi_u32 s35, s38, s10
	s_add_i32 s25, s24, s25
	s_mul_i32 s24, s8, s26
	s_add_i32 s34, s35, s34
	s_mul_i32 s35, s40, s10
	s_add_i32 s35, s34, s35
	s_lshl_b64 s[24:25], s[24:25], 2
	s_mul_i32 s34, s38, s10
	s_add_u32 s41, s42, s24
	s_addc_u32 s49, s43, s25
	s_lshl_b64 s[24:25], s[34:35], 2
	s_add_u32 s24, s41, s24
	s_addc_u32 s25, s49, s25
	s_load_dword s34, s[24:25], 0x0
	s_mul_i32 s24, s8, s15
	s_mul_hi_u32 s25, s8, s14
	s_add_i32 s24, s25, s24
	s_mul_i32 s25, s39, s14
	s_add_i32 s25, s24, s25
	s_mul_i32 s24, s8, s14
	s_waitcnt lgkmcnt(0)
	s_ashr_i32 s35, s34, 31
	s_lshl_b64 s[24:25], s[24:25], 1
	s_add_u32 s41, s44, s24
	s_addc_u32 s50, s45, s25
	s_mul_i32 s24, s38, s17
	s_mul_hi_u32 s25, s38, s16
	s_add_i32 s24, s25, s24
	s_mul_i32 s25, s40, s16
	s_add_i32 s25, s24, s25
	s_mul_i32 s24, s38, s16
	s_lshl_b64 s[24:25], s[24:25], 1
	s_add_u32 s49, s41, s24
	s_addc_u32 s41, s50, s25
	s_mul_i32 s24, s34, s19
	s_mul_hi_u32 s25, s34, s18
	s_add_i32 s24, s25, s24
	s_mul_i32 s35, s35, s18
	s_add_i32 s24, s24, s35
	s_mul_i32 s34, s34, s18
	s_add_u32 s25, s36, s34
	s_mul_i32 s34, s8, s21
	s_mul_hi_u32 s35, s8, s20
	s_addc_u32 s24, s37, s24
	s_add_i32 s34, s35, s34
	s_mul_i32 s39, s39, s20
	s_add_i32 s34, s34, s39
	s_mul_i32 s8, s8, s20
	s_add_u32 s8, s25, s8
	s_addc_u32 s25, s24, s34
	s_mul_i32 s24, s38, s23
	s_mul_hi_u32 s34, s38, s22
	s_add_i32 s24, s34, s24
	s_load_dword s34, s[4:5], 0x4
	s_mul_i32 s40, s40, s22
	s_add_i32 s35, s24, s40
	s_mul_i32 s38, s38, s22
	s_add_u32 s24, s8, s38
	s_waitcnt lgkmcnt(0)
	s_mul_i32 s8, s34, s31
	s_addc_u32 s25, s25, s35
	s_lshl_b64 s[34:35], s[8:9], 27
	s_mov_b64 s[38:39], 0
	v_mov_b32_e32 v12, s41
	v_mov_b32_e32 v13, s9
	v_mov_b32_e32 v14, s35
	v_pk_mov_b32 v[6:7], v[2:3], v[2:3] op_sel:[0,1]
	v_pk_mov_b32 v[8:9], v[0:1], v[0:1] op_sel:[0,1]
	s_branch .LBB35_6
.LBB35_5:                               ;   in Loop: Header=BB35_6 Depth=2
	s_or_b64 exec, exec, s[40:41]
	v_add_co_u32_e32 v8, vcc, s8, v8
	v_addc_co_u32_e32 v9, vcc, v9, v13, vcc
	v_cmp_le_i64_e32 vcc, s[28:29], v[8:9]
	s_or_b64 s[38:39], vcc, s[38:39]
	v_add_co_u32_e32 v6, vcc, s34, v6
	v_addc_co_u32_e32 v7, vcc, v7, v14, vcc
	global_store_short_d16_hi v[10:11], v16, off offset:32
	s_andn2_b64 exec, exec, s[38:39]
	s_cbranch_execz .LBB35_2
.LBB35_6:                               ;   Parent Loop BB35_3 Depth=1
                                        ; =>  This Inner Loop Header: Depth=2
	v_bfe_u32 v10, v8, 1, 4
	v_mad_i64_i32 v[16:17], s[40:41], v7, 18, s[24:25]
	v_add_co_u32_e32 v18, vcc, v16, v10
	v_addc_co_u32_e32 v19, vcc, 0, v17, vcc
	global_load_ushort v11, v[16:17], off
	global_load_ubyte v15, v[18:19], off offset:2
	s_waitcnt vmcnt(1)
	v_cvt_f32_f16_e32 v11, v11
	s_waitcnt vmcnt(0)
	v_and_b32_e32 v16, 15, v15
	v_add_u32_e32 v16, -8, v16
	v_cvt_f32_i32_e32 v16, v16
	v_mul_f32_e32 v17, v11, v16
	v_and_b32_e32 v16, 0x7f800000, v17
	v_cmp_ne_u32_e32 vcc, s46, v16
                                        ; implicit-def: $vgpr16
	s_and_saveexec_b64 s[40:41], vcc
	s_xor_b64 s[40:41], exec, s[40:41]
; %bb.7:                                ;   in Loop: Header=BB35_6 Depth=2
	v_bfe_u32 v16, v17, 16, 1
	v_add3_u32 v16, v17, v16, s47
                                        ; implicit-def: $vgpr17
; %bb.8:                                ;   in Loop: Header=BB35_6 Depth=2
	s_andn2_saveexec_b64 s[40:41], s[40:41]
; %bb.9:                                ;   in Loop: Header=BB35_6 Depth=2
	v_or_b32_e32 v16, 0x10000, v17
	v_cmp_eq_u32_sdwa vcc, v17, v1 src0_sel:WORD_0 src1_sel:DWORD
	v_cndmask_b32_e32 v16, v16, v17, vcc
; %bb.10:                               ;   in Loop: Header=BB35_6 Depth=2
	s_or_b64 exec, exec, s[40:41]
	v_lshrrev_b32_e32 v15, 4, v15
	v_add_u32_e32 v15, -8, v15
	v_cvt_f32_i32_e32 v15, v15
	v_and_or_b32 v18, v8, s48, v10
	v_ashrrev_i32_e32 v19, 31, v18
	v_lshlrev_b64 v[18:19], 1, v[18:19]
	v_add_co_u32_e32 v10, vcc, s49, v18
	v_mul_f32_e32 v15, v11, v15
	v_addc_co_u32_e32 v11, vcc, v12, v19, vcc
	global_store_short_d16_hi v[10:11], v16, off
	v_and_b32_e32 v16, 0x7f800000, v15
	v_cmp_ne_u32_e32 vcc, s46, v16
                                        ; implicit-def: $vgpr16
	s_and_saveexec_b64 s[40:41], vcc
	s_xor_b64 s[40:41], exec, s[40:41]
; %bb.11:                               ;   in Loop: Header=BB35_6 Depth=2
	v_bfe_u32 v16, v15, 16, 1
	v_add3_u32 v16, v15, v16, s47
                                        ; implicit-def: $vgpr15
; %bb.12:                               ;   in Loop: Header=BB35_6 Depth=2
	s_andn2_saveexec_b64 s[40:41], s[40:41]
	s_cbranch_execz .LBB35_5
; %bb.13:                               ;   in Loop: Header=BB35_6 Depth=2
	v_or_b32_e32 v16, 0x10000, v15
	v_cmp_eq_u32_sdwa vcc, v15, v1 src0_sel:WORD_0 src1_sel:DWORD
	v_cndmask_b32_e32 v16, v16, v15, vcc
	s_branch .LBB35_5
.LBB35_14:
	s_endpgm
	.section	.rodata,"a",@progbits
	.p2align	6, 0x0
	.amdhsa_kernel _ZL10k_get_rowsILi32ELi2EXadL_ZL15dequantize_q4_0PKvliR15HIP_vector_typeIfLj2EEEE14__hip_bfloat16EvS1_PKiPT2_llS2_IjLj3EEmmmmmmmmm
		.amdhsa_group_segment_fixed_size 0
		.amdhsa_private_segment_fixed_size 0
		.amdhsa_kernarg_size 384
		.amdhsa_user_sgpr_count 6
		.amdhsa_user_sgpr_private_segment_buffer 1
		.amdhsa_user_sgpr_dispatch_ptr 0
		.amdhsa_user_sgpr_queue_ptr 0
		.amdhsa_user_sgpr_kernarg_segment_ptr 1
		.amdhsa_user_sgpr_dispatch_id 0
		.amdhsa_user_sgpr_flat_scratch_init 0
		.amdhsa_user_sgpr_kernarg_preload_length 0
		.amdhsa_user_sgpr_kernarg_preload_offset 0
		.amdhsa_user_sgpr_private_segment_size 0
		.amdhsa_uses_dynamic_stack 0
		.amdhsa_system_sgpr_private_segment_wavefront_offset 0
		.amdhsa_system_sgpr_workgroup_id_x 1
		.amdhsa_system_sgpr_workgroup_id_y 1
		.amdhsa_system_sgpr_workgroup_id_z 1
		.amdhsa_system_sgpr_workgroup_info 0
		.amdhsa_system_vgpr_workitem_id 0
		.amdhsa_next_free_vgpr 20
		.amdhsa_next_free_sgpr 51
		.amdhsa_accum_offset 20
		.amdhsa_reserve_vcc 1
		.amdhsa_reserve_flat_scratch 0
		.amdhsa_float_round_mode_32 0
		.amdhsa_float_round_mode_16_64 0
		.amdhsa_float_denorm_mode_32 3
		.amdhsa_float_denorm_mode_16_64 3
		.amdhsa_dx10_clamp 1
		.amdhsa_ieee_mode 1
		.amdhsa_fp16_overflow 0
		.amdhsa_tg_split 0
		.amdhsa_exception_fp_ieee_invalid_op 0
		.amdhsa_exception_fp_denorm_src 0
		.amdhsa_exception_fp_ieee_div_zero 0
		.amdhsa_exception_fp_ieee_overflow 0
		.amdhsa_exception_fp_ieee_underflow 0
		.amdhsa_exception_fp_ieee_inexact 0
		.amdhsa_exception_int_div_zero 0
	.end_amdhsa_kernel
	.section	.text._ZL10k_get_rowsILi32ELi2EXadL_ZL15dequantize_q4_0PKvliR15HIP_vector_typeIfLj2EEEE14__hip_bfloat16EvS1_PKiPT2_llS2_IjLj3EEmmmmmmmmm,"axG",@progbits,_ZL10k_get_rowsILi32ELi2EXadL_ZL15dequantize_q4_0PKvliR15HIP_vector_typeIfLj2EEEE14__hip_bfloat16EvS1_PKiPT2_llS2_IjLj3EEmmmmmmmmm,comdat
.Lfunc_end35:
	.size	_ZL10k_get_rowsILi32ELi2EXadL_ZL15dequantize_q4_0PKvliR15HIP_vector_typeIfLj2EEEE14__hip_bfloat16EvS1_PKiPT2_llS2_IjLj3EEmmmmmmmmm, .Lfunc_end35-_ZL10k_get_rowsILi32ELi2EXadL_ZL15dequantize_q4_0PKvliR15HIP_vector_typeIfLj2EEEE14__hip_bfloat16EvS1_PKiPT2_llS2_IjLj3EEmmmmmmmmm
                                        ; -- End function
	.section	.AMDGPU.csdata,"",@progbits
; Kernel info:
; codeLenInByte = 936
; NumSgprs: 55
; NumVgprs: 20
; NumAgprs: 0
; TotalNumVgprs: 20
; ScratchSize: 0
; MemoryBound: 0
; FloatMode: 240
; IeeeMode: 1
; LDSByteSize: 0 bytes/workgroup (compile time only)
; SGPRBlocks: 6
; VGPRBlocks: 2
; NumSGPRsForWavesPerEU: 55
; NumVGPRsForWavesPerEU: 20
; AccumOffset: 20
; Occupancy: 8
; WaveLimiterHint : 1
; COMPUTE_PGM_RSRC2:SCRATCH_EN: 0
; COMPUTE_PGM_RSRC2:USER_SGPR: 6
; COMPUTE_PGM_RSRC2:TRAP_HANDLER: 0
; COMPUTE_PGM_RSRC2:TGID_X_EN: 1
; COMPUTE_PGM_RSRC2:TGID_Y_EN: 1
; COMPUTE_PGM_RSRC2:TGID_Z_EN: 1
; COMPUTE_PGM_RSRC2:TIDIG_COMP_CNT: 0
; COMPUTE_PGM_RSRC3_GFX90A:ACCUM_OFFSET: 4
; COMPUTE_PGM_RSRC3_GFX90A:TG_SPLIT: 0
	.section	.text._ZL10k_get_rowsILi32ELi2EXadL_ZL15dequantize_q4_1PKvliR15HIP_vector_typeIfLj2EEEE14__hip_bfloat16EvS1_PKiPT2_llS2_IjLj3EEmmmmmmmmm,"axG",@progbits,_ZL10k_get_rowsILi32ELi2EXadL_ZL15dequantize_q4_1PKvliR15HIP_vector_typeIfLj2EEEE14__hip_bfloat16EvS1_PKiPT2_llS2_IjLj3EEmmmmmmmmm,comdat
	.globl	_ZL10k_get_rowsILi32ELi2EXadL_ZL15dequantize_q4_1PKvliR15HIP_vector_typeIfLj2EEEE14__hip_bfloat16EvS1_PKiPT2_llS2_IjLj3EEmmmmmmmmm ; -- Begin function _ZL10k_get_rowsILi32ELi2EXadL_ZL15dequantize_q4_1PKvliR15HIP_vector_typeIfLj2EEEE14__hip_bfloat16EvS1_PKiPT2_llS2_IjLj3EEmmmmmmmmm
	.p2align	8
	.type	_ZL10k_get_rowsILi32ELi2EXadL_ZL15dequantize_q4_1PKvliR15HIP_vector_typeIfLj2EEEE14__hip_bfloat16EvS1_PKiPT2_llS2_IjLj3EEmmmmmmmmm,@function
_ZL10k_get_rowsILi32ELi2EXadL_ZL15dequantize_q4_1PKvliR15HIP_vector_typeIfLj2EEEE14__hip_bfloat16EvS1_PKiPT2_llS2_IjLj3EEmmmmmmmmm: ; @_ZL10k_get_rowsILi32ELi2EXadL_ZL15dequantize_q4_1PKvliR15HIP_vector_typeIfLj2EEEE14__hip_bfloat16EvS1_PKiPT2_llS2_IjLj3EEmmmmmmmmm
; %bb.0:
	s_load_dwordx4 s[28:31], s[4:5], 0x18
	s_load_dwordx2 s[2:3], s[4:5], 0x2c
	s_mov_b32 s9, 0
	v_pk_mov_b32 v[2:3], s[8:9], s[8:9] op_sel:[0,1]
	s_waitcnt lgkmcnt(0)
	s_mul_i32 s0, s3, s31
	s_mul_hi_u32 s1, s3, s30
	s_add_i32 s35, s1, s0
	s_mul_i32 s34, s3, s30
	v_cmp_le_i64_e32 vcc, s[34:35], v[2:3]
	s_cbranch_vccnz .LBB36_14
; %bb.1:
	s_load_dwordx4 s[36:39], s[4:5], 0x0
	s_load_dwordx2 s[40:41], s[4:5], 0x10
	s_load_dwordx2 s[10:11], s[4:5], 0x78
	;; [unrolled: 1-line block ×3, first 2 shown]
	s_load_dword s33, s[4:5], 0x28
	s_load_dwordx16 s[12:27], s[4:5], 0x38
	s_add_u32 s4, s4, 0x80
	s_addc_u32 s5, s5, 0
	s_waitcnt lgkmcnt(0)
	s_and_b32 s31, s31, 0xffff
	s_mul_i32 s7, s7, s31
	v_add_lshl_u32 v0, s7, v0, 1
	s_ashr_i32 s7, s6, 31
	s_mul_i32 s25, s6, s25
	s_mul_hi_u32 s42, s6, s24
	s_add_i32 s25, s42, s25
	s_mul_i32 s42, s7, s24
	s_add_i32 s25, s25, s42
	s_mul_i32 s24, s6, s24
	s_lshl_b64 s[24:25], s[24:25], 2
	s_add_u32 s42, s38, s24
	s_mul_i32 s13, s6, s13
	s_mul_hi_u32 s24, s6, s12
	s_addc_u32 s43, s39, s25
	s_add_i32 s13, s24, s13
	s_mul_i32 s7, s7, s12
	s_add_i32 s7, s13, s7
	s_mul_i32 s6, s6, s12
	s_lshl_b64 s[6:7], s[6:7], 1
	v_mov_b32_e32 v1, 0
	s_add_u32 s44, s40, s6
	v_cmp_gt_i64_e64 s[0:1], s[28:29], v[0:1]
	s_addc_u32 s45, s41, s7
	v_lshlrev_b64 v[2:3], 27, v[0:1]
	s_mov_b32 s46, 0x7f800000
	s_movk_i32 s47, 0x7fff
	s_movk_i32 s48, 0xffe0
	v_pk_mov_b32 v[4:5], s[34:35], s[34:35] op_sel:[0,1]
	s_mov_b64 s[6:7], s[8:9]
	s_branch .LBB36_3
.LBB36_2:                               ;   in Loop: Header=BB36_3 Depth=1
	s_or_b64 exec, exec, s[12:13]
	s_add_u32 s6, s6, s30
	s_addc_u32 s7, s7, 0
	v_cmp_ge_i64_e32 vcc, s[6:7], v[4:5]
	s_cbranch_vccnz .LBB36_14
.LBB36_3:                               ; =>This Loop Header: Depth=1
                                        ;     Child Loop BB36_6 Depth 2
	s_and_saveexec_b64 s[12:13], s[0:1]
	s_cbranch_execz .LBB36_2
; %bb.4:                                ;   in Loop: Header=BB36_3 Depth=1
	s_mul_hi_u32 s8, s6, s33
	s_add_i32 s8, s8, s6
	s_lshr_b32 s8, s8, s2
	s_mul_i32 s24, s8, s3
	s_sub_i32 s38, s6, s24
	s_ashr_i32 s39, s8, 31
	s_mul_i32 s24, s8, s27
	s_mul_hi_u32 s25, s8, s26
	s_add_i32 s24, s25, s24
	s_mul_i32 s25, s39, s26
	s_ashr_i32 s40, s38, 31
	s_mul_i32 s34, s38, s11
	s_mul_hi_u32 s35, s38, s10
	s_add_i32 s25, s24, s25
	s_mul_i32 s24, s8, s26
	s_add_i32 s34, s35, s34
	s_mul_i32 s35, s40, s10
	s_add_i32 s35, s34, s35
	s_lshl_b64 s[24:25], s[24:25], 2
	s_mul_i32 s34, s38, s10
	s_add_u32 s41, s42, s24
	s_addc_u32 s49, s43, s25
	s_lshl_b64 s[24:25], s[34:35], 2
	s_add_u32 s24, s41, s24
	s_addc_u32 s25, s49, s25
	s_load_dword s34, s[24:25], 0x0
	s_mul_i32 s24, s8, s15
	s_mul_hi_u32 s25, s8, s14
	s_add_i32 s24, s25, s24
	s_mul_i32 s25, s39, s14
	s_add_i32 s25, s24, s25
	s_mul_i32 s24, s8, s14
	s_waitcnt lgkmcnt(0)
	s_ashr_i32 s35, s34, 31
	s_lshl_b64 s[24:25], s[24:25], 1
	s_add_u32 s41, s44, s24
	s_addc_u32 s50, s45, s25
	s_mul_i32 s24, s38, s17
	s_mul_hi_u32 s25, s38, s16
	s_add_i32 s24, s25, s24
	s_mul_i32 s25, s40, s16
	s_add_i32 s25, s24, s25
	s_mul_i32 s24, s38, s16
	s_lshl_b64 s[24:25], s[24:25], 1
	s_add_u32 s49, s41, s24
	s_addc_u32 s41, s50, s25
	s_mul_i32 s24, s34, s19
	s_mul_hi_u32 s25, s34, s18
	s_add_i32 s24, s25, s24
	s_mul_i32 s35, s35, s18
	s_add_i32 s24, s24, s35
	s_mul_i32 s34, s34, s18
	s_add_u32 s25, s36, s34
	s_mul_i32 s34, s8, s21
	s_mul_hi_u32 s35, s8, s20
	s_addc_u32 s24, s37, s24
	s_add_i32 s34, s35, s34
	s_mul_i32 s39, s39, s20
	s_add_i32 s34, s34, s39
	s_mul_i32 s8, s8, s20
	s_add_u32 s8, s25, s8
	s_addc_u32 s25, s24, s34
	s_mul_i32 s24, s38, s23
	s_mul_hi_u32 s34, s38, s22
	s_add_i32 s24, s34, s24
	s_load_dword s34, s[4:5], 0x4
	s_mul_i32 s40, s40, s22
	s_add_i32 s35, s24, s40
	s_mul_i32 s38, s38, s22
	s_add_u32 s24, s8, s38
	s_waitcnt lgkmcnt(0)
	s_mul_i32 s8, s34, s31
	s_addc_u32 s25, s25, s35
	s_lshl_b64 s[34:35], s[8:9], 27
	s_mov_b64 s[38:39], 0
	v_mov_b32_e32 v12, s41
	v_mov_b32_e32 v13, s9
	;; [unrolled: 1-line block ×3, first 2 shown]
	v_pk_mov_b32 v[6:7], v[2:3], v[2:3] op_sel:[0,1]
	v_pk_mov_b32 v[8:9], v[0:1], v[0:1] op_sel:[0,1]
	s_branch .LBB36_6
.LBB36_5:                               ;   in Loop: Header=BB36_6 Depth=2
	s_or_b64 exec, exec, s[40:41]
	v_add_co_u32_e32 v8, vcc, s8, v8
	v_addc_co_u32_e32 v9, vcc, v9, v13, vcc
	v_cmp_le_i64_e32 vcc, s[28:29], v[8:9]
	s_or_b64 s[38:39], vcc, s[38:39]
	v_add_co_u32_e32 v6, vcc, s34, v6
	v_addc_co_u32_e32 v7, vcc, v7, v14, vcc
	global_store_short_d16_hi v[10:11], v16, off offset:32
	s_andn2_b64 exec, exec, s[38:39]
	s_cbranch_execz .LBB36_2
.LBB36_6:                               ;   Parent Loop BB36_3 Depth=1
                                        ; =>  This Inner Loop Header: Depth=2
	v_bfe_u32 v10, v8, 1, 4
	v_mad_i64_i32 v[16:17], s[40:41], v7, 20, s[24:25]
	v_add_co_u32_e32 v18, vcc, v16, v10
	v_addc_co_u32_e32 v19, vcc, 0, v17, vcc
	global_load_ubyte v11, v[18:19], off offset:4
	global_load_dword v15, v[16:17], off
	s_waitcnt vmcnt(1)
	v_and_b32_e32 v16, 15, v11
	v_cvt_f32_ubyte0_e32 v16, v16
	s_waitcnt vmcnt(0)
	v_fma_mix_f32 v17, v15, v16, v15 op_sel:[0,0,1] op_sel_hi:[1,0,1]
	v_and_b32_e32 v16, 0x7f800000, v17
	v_cmp_ne_u32_e32 vcc, s46, v16
                                        ; implicit-def: $vgpr16
	s_and_saveexec_b64 s[40:41], vcc
	s_xor_b64 s[40:41], exec, s[40:41]
; %bb.7:                                ;   in Loop: Header=BB36_6 Depth=2
	v_bfe_u32 v16, v17, 16, 1
	v_add3_u32 v16, v17, v16, s47
                                        ; implicit-def: $vgpr17
; %bb.8:                                ;   in Loop: Header=BB36_6 Depth=2
	s_andn2_saveexec_b64 s[40:41], s[40:41]
; %bb.9:                                ;   in Loop: Header=BB36_6 Depth=2
	v_or_b32_e32 v16, 0x10000, v17
	v_cmp_eq_u32_sdwa vcc, v17, v1 src0_sel:WORD_0 src1_sel:DWORD
	v_cndmask_b32_e32 v16, v16, v17, vcc
; %bb.10:                               ;   in Loop: Header=BB36_6 Depth=2
	s_or_b64 exec, exec, s[40:41]
	v_cvt_f32_f16_e32 v17, v15
	v_cvt_f32_f16_sdwa v15, v15 dst_sel:DWORD dst_unused:UNUSED_PAD src0_sel:WORD_1
	v_lshrrev_b32_e32 v11, 4, v11
	v_cvt_f32_ubyte0_e32 v11, v11
	v_and_or_b32 v10, v8, s48, v10
	v_fmac_f32_e32 v15, v17, v11
	v_ashrrev_i32_e32 v11, 31, v10
	v_lshlrev_b64 v[10:11], 1, v[10:11]
	v_add_co_u32_e32 v10, vcc, s49, v10
	v_addc_co_u32_e32 v11, vcc, v12, v11, vcc
	global_store_short_d16_hi v[10:11], v16, off
	v_and_b32_e32 v16, 0x7f800000, v15
	v_cmp_ne_u32_e32 vcc, s46, v16
                                        ; implicit-def: $vgpr16
	s_and_saveexec_b64 s[40:41], vcc
	s_xor_b64 s[40:41], exec, s[40:41]
; %bb.11:                               ;   in Loop: Header=BB36_6 Depth=2
	v_bfe_u32 v16, v15, 16, 1
	v_add3_u32 v16, v15, v16, s47
                                        ; implicit-def: $vgpr15
; %bb.12:                               ;   in Loop: Header=BB36_6 Depth=2
	s_andn2_saveexec_b64 s[40:41], s[40:41]
	s_cbranch_execz .LBB36_5
; %bb.13:                               ;   in Loop: Header=BB36_6 Depth=2
	v_or_b32_e32 v16, 0x10000, v15
	v_cmp_eq_u32_sdwa vcc, v15, v1 src0_sel:WORD_0 src1_sel:DWORD
	v_cndmask_b32_e32 v16, v16, v15, vcc
	s_branch .LBB36_5
.LBB36_14:
	s_endpgm
	.section	.rodata,"a",@progbits
	.p2align	6, 0x0
	.amdhsa_kernel _ZL10k_get_rowsILi32ELi2EXadL_ZL15dequantize_q4_1PKvliR15HIP_vector_typeIfLj2EEEE14__hip_bfloat16EvS1_PKiPT2_llS2_IjLj3EEmmmmmmmmm
		.amdhsa_group_segment_fixed_size 0
		.amdhsa_private_segment_fixed_size 0
		.amdhsa_kernarg_size 384
		.amdhsa_user_sgpr_count 6
		.amdhsa_user_sgpr_private_segment_buffer 1
		.amdhsa_user_sgpr_dispatch_ptr 0
		.amdhsa_user_sgpr_queue_ptr 0
		.amdhsa_user_sgpr_kernarg_segment_ptr 1
		.amdhsa_user_sgpr_dispatch_id 0
		.amdhsa_user_sgpr_flat_scratch_init 0
		.amdhsa_user_sgpr_kernarg_preload_length 0
		.amdhsa_user_sgpr_kernarg_preload_offset 0
		.amdhsa_user_sgpr_private_segment_size 0
		.amdhsa_uses_dynamic_stack 0
		.amdhsa_system_sgpr_private_segment_wavefront_offset 0
		.amdhsa_system_sgpr_workgroup_id_x 1
		.amdhsa_system_sgpr_workgroup_id_y 1
		.amdhsa_system_sgpr_workgroup_id_z 1
		.amdhsa_system_sgpr_workgroup_info 0
		.amdhsa_system_vgpr_workitem_id 0
		.amdhsa_next_free_vgpr 20
		.amdhsa_next_free_sgpr 51
		.amdhsa_accum_offset 20
		.amdhsa_reserve_vcc 1
		.amdhsa_reserve_flat_scratch 0
		.amdhsa_float_round_mode_32 0
		.amdhsa_float_round_mode_16_64 0
		.amdhsa_float_denorm_mode_32 3
		.amdhsa_float_denorm_mode_16_64 3
		.amdhsa_dx10_clamp 1
		.amdhsa_ieee_mode 1
		.amdhsa_fp16_overflow 0
		.amdhsa_tg_split 0
		.amdhsa_exception_fp_ieee_invalid_op 0
		.amdhsa_exception_fp_denorm_src 0
		.amdhsa_exception_fp_ieee_div_zero 0
		.amdhsa_exception_fp_ieee_overflow 0
		.amdhsa_exception_fp_ieee_underflow 0
		.amdhsa_exception_fp_ieee_inexact 0
		.amdhsa_exception_int_div_zero 0
	.end_amdhsa_kernel
	.section	.text._ZL10k_get_rowsILi32ELi2EXadL_ZL15dequantize_q4_1PKvliR15HIP_vector_typeIfLj2EEEE14__hip_bfloat16EvS1_PKiPT2_llS2_IjLj3EEmmmmmmmmm,"axG",@progbits,_ZL10k_get_rowsILi32ELi2EXadL_ZL15dequantize_q4_1PKvliR15HIP_vector_typeIfLj2EEEE14__hip_bfloat16EvS1_PKiPT2_llS2_IjLj3EEmmmmmmmmm,comdat
.Lfunc_end36:
	.size	_ZL10k_get_rowsILi32ELi2EXadL_ZL15dequantize_q4_1PKvliR15HIP_vector_typeIfLj2EEEE14__hip_bfloat16EvS1_PKiPT2_llS2_IjLj3EEmmmmmmmmm, .Lfunc_end36-_ZL10k_get_rowsILi32ELi2EXadL_ZL15dequantize_q4_1PKvliR15HIP_vector_typeIfLj2EEEE14__hip_bfloat16EvS1_PKiPT2_llS2_IjLj3EEmmmmmmmmm
                                        ; -- End function
	.section	.AMDGPU.csdata,"",@progbits
; Kernel info:
; codeLenInByte = 940
; NumSgprs: 55
; NumVgprs: 20
; NumAgprs: 0
; TotalNumVgprs: 20
; ScratchSize: 0
; MemoryBound: 0
; FloatMode: 240
; IeeeMode: 1
; LDSByteSize: 0 bytes/workgroup (compile time only)
; SGPRBlocks: 6
; VGPRBlocks: 2
; NumSGPRsForWavesPerEU: 55
; NumVGPRsForWavesPerEU: 20
; AccumOffset: 20
; Occupancy: 8
; WaveLimiterHint : 1
; COMPUTE_PGM_RSRC2:SCRATCH_EN: 0
; COMPUTE_PGM_RSRC2:USER_SGPR: 6
; COMPUTE_PGM_RSRC2:TRAP_HANDLER: 0
; COMPUTE_PGM_RSRC2:TGID_X_EN: 1
; COMPUTE_PGM_RSRC2:TGID_Y_EN: 1
; COMPUTE_PGM_RSRC2:TGID_Z_EN: 1
; COMPUTE_PGM_RSRC2:TIDIG_COMP_CNT: 0
; COMPUTE_PGM_RSRC3_GFX90A:ACCUM_OFFSET: 4
; COMPUTE_PGM_RSRC3_GFX90A:TG_SPLIT: 0
	.section	.text._ZL10k_get_rowsILi32ELi2EXadL_ZL15dequantize_q5_0PKvliR15HIP_vector_typeIfLj2EEEE14__hip_bfloat16EvS1_PKiPT2_llS2_IjLj3EEmmmmmmmmm,"axG",@progbits,_ZL10k_get_rowsILi32ELi2EXadL_ZL15dequantize_q5_0PKvliR15HIP_vector_typeIfLj2EEEE14__hip_bfloat16EvS1_PKiPT2_llS2_IjLj3EEmmmmmmmmm,comdat
	.globl	_ZL10k_get_rowsILi32ELi2EXadL_ZL15dequantize_q5_0PKvliR15HIP_vector_typeIfLj2EEEE14__hip_bfloat16EvS1_PKiPT2_llS2_IjLj3EEmmmmmmmmm ; -- Begin function _ZL10k_get_rowsILi32ELi2EXadL_ZL15dequantize_q5_0PKvliR15HIP_vector_typeIfLj2EEEE14__hip_bfloat16EvS1_PKiPT2_llS2_IjLj3EEmmmmmmmmm
	.p2align	8
	.type	_ZL10k_get_rowsILi32ELi2EXadL_ZL15dequantize_q5_0PKvliR15HIP_vector_typeIfLj2EEEE14__hip_bfloat16EvS1_PKiPT2_llS2_IjLj3EEmmmmmmmmm,@function
_ZL10k_get_rowsILi32ELi2EXadL_ZL15dequantize_q5_0PKvliR15HIP_vector_typeIfLj2EEEE14__hip_bfloat16EvS1_PKiPT2_llS2_IjLj3EEmmmmmmmmm: ; @_ZL10k_get_rowsILi32ELi2EXadL_ZL15dequantize_q5_0PKvliR15HIP_vector_typeIfLj2EEEE14__hip_bfloat16EvS1_PKiPT2_llS2_IjLj3EEmmmmmmmmm
; %bb.0:
	s_load_dwordx4 s[28:31], s[4:5], 0x18
	s_load_dwordx2 s[2:3], s[4:5], 0x2c
	s_mov_b32 s9, 0
	v_pk_mov_b32 v[2:3], s[8:9], s[8:9] op_sel:[0,1]
	s_waitcnt lgkmcnt(0)
	s_mul_i32 s0, s3, s31
	s_mul_hi_u32 s1, s3, s30
	s_add_i32 s35, s1, s0
	s_mul_i32 s34, s3, s30
	v_cmp_le_i64_e32 vcc, s[34:35], v[2:3]
	s_cbranch_vccnz .LBB37_14
; %bb.1:
	s_load_dwordx4 s[36:39], s[4:5], 0x0
	s_load_dwordx2 s[40:41], s[4:5], 0x10
	s_load_dwordx2 s[10:11], s[4:5], 0x78
	;; [unrolled: 1-line block ×3, first 2 shown]
	s_load_dword s33, s[4:5], 0x28
	s_load_dwordx16 s[12:27], s[4:5], 0x38
	s_add_u32 s4, s4, 0x80
	s_addc_u32 s5, s5, 0
	s_waitcnt lgkmcnt(0)
	s_and_b32 s31, s31, 0xffff
	s_mul_i32 s7, s7, s31
	v_add_lshl_u32 v0, s7, v0, 1
	s_ashr_i32 s7, s6, 31
	s_mul_i32 s25, s6, s25
	s_mul_hi_u32 s42, s6, s24
	s_add_i32 s25, s42, s25
	s_mul_i32 s42, s7, s24
	s_add_i32 s25, s25, s42
	s_mul_i32 s24, s6, s24
	s_lshl_b64 s[24:25], s[24:25], 2
	s_add_u32 s42, s38, s24
	s_mul_i32 s13, s6, s13
	s_mul_hi_u32 s24, s6, s12
	s_addc_u32 s43, s39, s25
	s_add_i32 s13, s24, s13
	s_mul_i32 s7, s7, s12
	s_add_i32 s7, s13, s7
	s_mul_i32 s6, s6, s12
	s_lshl_b64 s[6:7], s[6:7], 1
	v_mov_b32_e32 v1, 0
	s_add_u32 s44, s40, s6
	v_cmp_gt_i64_e64 s[0:1], s[28:29], v[0:1]
	s_addc_u32 s45, s41, s7
	v_lshlrev_b64 v[2:3], 27, v[0:1]
	s_mov_b32 s46, 0x1000706
	s_mov_b32 s47, 0x7f800000
	s_movk_i32 s48, 0x7fff
	s_movk_i32 s49, 0xffe0
	v_pk_mov_b32 v[4:5], s[34:35], s[34:35] op_sel:[0,1]
	s_mov_b64 s[6:7], s[8:9]
	s_branch .LBB37_3
.LBB37_2:                               ;   in Loop: Header=BB37_3 Depth=1
	s_or_b64 exec, exec, s[12:13]
	s_add_u32 s6, s6, s30
	s_addc_u32 s7, s7, 0
	v_cmp_ge_i64_e32 vcc, s[6:7], v[4:5]
	s_cbranch_vccnz .LBB37_14
.LBB37_3:                               ; =>This Loop Header: Depth=1
                                        ;     Child Loop BB37_6 Depth 2
	s_and_saveexec_b64 s[12:13], s[0:1]
	s_cbranch_execz .LBB37_2
; %bb.4:                                ;   in Loop: Header=BB37_3 Depth=1
	s_mul_hi_u32 s8, s6, s33
	s_add_i32 s8, s8, s6
	s_lshr_b32 s8, s8, s2
	s_mul_i32 s24, s8, s3
	s_sub_i32 s38, s6, s24
	s_ashr_i32 s39, s8, 31
	s_mul_i32 s24, s8, s27
	s_mul_hi_u32 s25, s8, s26
	s_add_i32 s24, s25, s24
	s_mul_i32 s25, s39, s26
	s_ashr_i32 s40, s38, 31
	s_mul_i32 s34, s38, s11
	s_mul_hi_u32 s35, s38, s10
	s_add_i32 s25, s24, s25
	s_mul_i32 s24, s8, s26
	s_add_i32 s34, s35, s34
	s_mul_i32 s35, s40, s10
	s_add_i32 s35, s34, s35
	s_lshl_b64 s[24:25], s[24:25], 2
	s_mul_i32 s34, s38, s10
	s_add_u32 s41, s42, s24
	s_addc_u32 s50, s43, s25
	s_lshl_b64 s[24:25], s[34:35], 2
	s_add_u32 s24, s41, s24
	s_addc_u32 s25, s50, s25
	s_load_dword s34, s[24:25], 0x0
	s_mul_i32 s24, s8, s15
	s_mul_hi_u32 s25, s8, s14
	s_add_i32 s24, s25, s24
	s_mul_i32 s25, s39, s14
	s_add_i32 s25, s24, s25
	s_mul_i32 s24, s8, s14
	s_waitcnt lgkmcnt(0)
	s_ashr_i32 s35, s34, 31
	s_lshl_b64 s[24:25], s[24:25], 1
	s_add_u32 s41, s44, s24
	s_addc_u32 s51, s45, s25
	s_mul_i32 s24, s38, s17
	s_mul_hi_u32 s25, s38, s16
	s_add_i32 s24, s25, s24
	s_mul_i32 s25, s40, s16
	s_add_i32 s25, s24, s25
	s_mul_i32 s24, s38, s16
	s_lshl_b64 s[24:25], s[24:25], 1
	s_add_u32 s50, s41, s24
	s_addc_u32 s41, s51, s25
	s_mul_i32 s24, s34, s19
	s_mul_hi_u32 s25, s34, s18
	s_add_i32 s24, s25, s24
	s_mul_i32 s35, s35, s18
	s_add_i32 s24, s24, s35
	s_mul_i32 s34, s34, s18
	s_add_u32 s25, s36, s34
	s_mul_i32 s34, s8, s21
	s_mul_hi_u32 s35, s8, s20
	s_addc_u32 s24, s37, s24
	s_add_i32 s34, s35, s34
	s_mul_i32 s39, s39, s20
	s_add_i32 s34, s34, s39
	s_mul_i32 s8, s8, s20
	s_add_u32 s8, s25, s8
	s_addc_u32 s25, s24, s34
	s_mul_i32 s24, s38, s23
	s_mul_hi_u32 s34, s38, s22
	s_add_i32 s24, s34, s24
	s_load_dword s34, s[4:5], 0x4
	s_mul_i32 s40, s40, s22
	s_add_i32 s35, s24, s40
	s_mul_i32 s38, s38, s22
	s_add_u32 s24, s8, s38
	s_waitcnt lgkmcnt(0)
	s_mul_i32 s8, s34, s31
	s_addc_u32 s25, s25, s35
	s_lshl_b64 s[34:35], s[8:9], 27
	s_mov_b64 s[38:39], 0
	v_mov_b32_e32 v12, s41
	v_mov_b32_e32 v13, s9
	;; [unrolled: 1-line block ×3, first 2 shown]
	v_pk_mov_b32 v[6:7], v[2:3], v[2:3] op_sel:[0,1]
	v_pk_mov_b32 v[8:9], v[0:1], v[0:1] op_sel:[0,1]
	s_branch .LBB37_6
.LBB37_5:                               ;   in Loop: Header=BB37_6 Depth=2
	s_or_b64 exec, exec, s[40:41]
	v_add_co_u32_e32 v8, vcc, s8, v8
	v_addc_co_u32_e32 v9, vcc, v9, v13, vcc
	v_cmp_le_i64_e32 vcc, s[28:29], v[8:9]
	s_or_b64 s[38:39], vcc, s[38:39]
	v_add_co_u32_e32 v6, vcc, s34, v6
	v_addc_co_u32_e32 v7, vcc, v7, v14, vcc
	global_store_short_d16_hi v[10:11], v16, off offset:32
	s_andn2_b64 exec, exec, s[38:39]
	s_cbranch_execz .LBB37_2
.LBB37_6:                               ;   Parent Loop BB37_3 Depth=1
                                        ; =>  This Inner Loop Header: Depth=2
	v_mad_i64_i32 v[16:17], s[40:41], v7, 22, s[24:25]
	v_bfe_u32 v10, v8, 1, 4
	global_load_dword v18, v[16:17], off
	global_load_ushort v19, v[16:17], off offset:4
	v_add_co_u32_e32 v16, vcc, v16, v10
	v_addc_co_u32_e32 v17, vcc, 0, v17, vcc
	global_load_ubyte v15, v[16:17], off offset:6
	s_waitcnt vmcnt(2)
	v_cvt_f32_f16_e32 v11, v18
	s_waitcnt vmcnt(1)
	v_perm_b32 v17, v18, v19, s46
	v_lshrrev_b32_e32 v16, v10, v17
	v_lshlrev_b32_e32 v16, 4, v16
	v_and_b32_e32 v16, 16, v16
	s_waitcnt vmcnt(0)
	v_or_b32_e32 v18, -16, v15
	v_add_u32_e32 v16, v18, v16
	v_cvt_f32_i32_e32 v16, v16
	v_mul_f32_e32 v18, v11, v16
	v_and_b32_e32 v16, 0x7f800000, v18
	v_cmp_ne_u32_e32 vcc, s47, v16
                                        ; implicit-def: $vgpr16
	s_and_saveexec_b64 s[40:41], vcc
	s_xor_b64 s[40:41], exec, s[40:41]
; %bb.7:                                ;   in Loop: Header=BB37_6 Depth=2
	v_bfe_u32 v16, v18, 16, 1
	v_add3_u32 v16, v18, v16, s48
                                        ; implicit-def: $vgpr18
; %bb.8:                                ;   in Loop: Header=BB37_6 Depth=2
	s_andn2_saveexec_b64 s[40:41], s[40:41]
; %bb.9:                                ;   in Loop: Header=BB37_6 Depth=2
	v_or_b32_e32 v16, 0x10000, v18
	v_cmp_eq_u32_sdwa vcc, v18, v1 src0_sel:WORD_0 src1_sel:DWORD
	v_cndmask_b32_e32 v16, v16, v18, vcc
; %bb.10:                               ;   in Loop: Header=BB37_6 Depth=2
	s_or_b64 exec, exec, s[40:41]
	v_add_u32_e32 v18, 12, v10
	v_lshrrev_b32_e32 v17, v18, v17
	v_lshrrev_b16_e32 v15, 4, v15
	v_and_b32_e32 v17, 16, v17
	v_or_b32_e32 v15, -16, v15
	v_add_u32_sdwa v15, v17, sext(v15) dst_sel:DWORD dst_unused:UNUSED_PAD src0_sel:DWORD src1_sel:WORD_0
	v_cvt_f32_i32_e32 v15, v15
	v_and_or_b32 v10, v8, s49, v10
	v_mul_f32_e32 v15, v11, v15
	v_ashrrev_i32_e32 v11, 31, v10
	v_lshlrev_b64 v[10:11], 1, v[10:11]
	v_add_co_u32_e32 v10, vcc, s50, v10
	v_addc_co_u32_e32 v11, vcc, v12, v11, vcc
	global_store_short_d16_hi v[10:11], v16, off
	v_and_b32_e32 v16, 0x7f800000, v15
	v_cmp_ne_u32_e32 vcc, s47, v16
                                        ; implicit-def: $vgpr16
	s_and_saveexec_b64 s[40:41], vcc
	s_xor_b64 s[40:41], exec, s[40:41]
; %bb.11:                               ;   in Loop: Header=BB37_6 Depth=2
	v_bfe_u32 v16, v15, 16, 1
	v_add3_u32 v16, v15, v16, s48
                                        ; implicit-def: $vgpr15
; %bb.12:                               ;   in Loop: Header=BB37_6 Depth=2
	s_andn2_saveexec_b64 s[40:41], s[40:41]
	s_cbranch_execz .LBB37_5
; %bb.13:                               ;   in Loop: Header=BB37_6 Depth=2
	v_or_b32_e32 v16, 0x10000, v15
	v_cmp_eq_u32_sdwa vcc, v15, v1 src0_sel:WORD_0 src1_sel:DWORD
	v_cndmask_b32_e32 v16, v16, v15, vcc
	s_branch .LBB37_5
.LBB37_14:
	s_endpgm
	.section	.rodata,"a",@progbits
	.p2align	6, 0x0
	.amdhsa_kernel _ZL10k_get_rowsILi32ELi2EXadL_ZL15dequantize_q5_0PKvliR15HIP_vector_typeIfLj2EEEE14__hip_bfloat16EvS1_PKiPT2_llS2_IjLj3EEmmmmmmmmm
		.amdhsa_group_segment_fixed_size 0
		.amdhsa_private_segment_fixed_size 0
		.amdhsa_kernarg_size 384
		.amdhsa_user_sgpr_count 6
		.amdhsa_user_sgpr_private_segment_buffer 1
		.amdhsa_user_sgpr_dispatch_ptr 0
		.amdhsa_user_sgpr_queue_ptr 0
		.amdhsa_user_sgpr_kernarg_segment_ptr 1
		.amdhsa_user_sgpr_dispatch_id 0
		.amdhsa_user_sgpr_flat_scratch_init 0
		.amdhsa_user_sgpr_kernarg_preload_length 0
		.amdhsa_user_sgpr_kernarg_preload_offset 0
		.amdhsa_user_sgpr_private_segment_size 0
		.amdhsa_uses_dynamic_stack 0
		.amdhsa_system_sgpr_private_segment_wavefront_offset 0
		.amdhsa_system_sgpr_workgroup_id_x 1
		.amdhsa_system_sgpr_workgroup_id_y 1
		.amdhsa_system_sgpr_workgroup_id_z 1
		.amdhsa_system_sgpr_workgroup_info 0
		.amdhsa_system_vgpr_workitem_id 0
		.amdhsa_next_free_vgpr 20
		.amdhsa_next_free_sgpr 52
		.amdhsa_accum_offset 20
		.amdhsa_reserve_vcc 1
		.amdhsa_reserve_flat_scratch 0
		.amdhsa_float_round_mode_32 0
		.amdhsa_float_round_mode_16_64 0
		.amdhsa_float_denorm_mode_32 3
		.amdhsa_float_denorm_mode_16_64 3
		.amdhsa_dx10_clamp 1
		.amdhsa_ieee_mode 1
		.amdhsa_fp16_overflow 0
		.amdhsa_tg_split 0
		.amdhsa_exception_fp_ieee_invalid_op 0
		.amdhsa_exception_fp_denorm_src 0
		.amdhsa_exception_fp_ieee_div_zero 0
		.amdhsa_exception_fp_ieee_overflow 0
		.amdhsa_exception_fp_ieee_underflow 0
		.amdhsa_exception_fp_ieee_inexact 0
		.amdhsa_exception_int_div_zero 0
	.end_amdhsa_kernel
	.section	.text._ZL10k_get_rowsILi32ELi2EXadL_ZL15dequantize_q5_0PKvliR15HIP_vector_typeIfLj2EEEE14__hip_bfloat16EvS1_PKiPT2_llS2_IjLj3EEmmmmmmmmm,"axG",@progbits,_ZL10k_get_rowsILi32ELi2EXadL_ZL15dequantize_q5_0PKvliR15HIP_vector_typeIfLj2EEEE14__hip_bfloat16EvS1_PKiPT2_llS2_IjLj3EEmmmmmmmmm,comdat
.Lfunc_end37:
	.size	_ZL10k_get_rowsILi32ELi2EXadL_ZL15dequantize_q5_0PKvliR15HIP_vector_typeIfLj2EEEE14__hip_bfloat16EvS1_PKiPT2_llS2_IjLj3EEmmmmmmmmm, .Lfunc_end37-_ZL10k_get_rowsILi32ELi2EXadL_ZL15dequantize_q5_0PKvliR15HIP_vector_typeIfLj2EEEE14__hip_bfloat16EvS1_PKiPT2_llS2_IjLj3EEmmmmmmmmm
                                        ; -- End function
	.section	.AMDGPU.csdata,"",@progbits
; Kernel info:
; codeLenInByte = 996
; NumSgprs: 56
; NumVgprs: 20
; NumAgprs: 0
; TotalNumVgprs: 20
; ScratchSize: 0
; MemoryBound: 0
; FloatMode: 240
; IeeeMode: 1
; LDSByteSize: 0 bytes/workgroup (compile time only)
; SGPRBlocks: 6
; VGPRBlocks: 2
; NumSGPRsForWavesPerEU: 56
; NumVGPRsForWavesPerEU: 20
; AccumOffset: 20
; Occupancy: 8
; WaveLimiterHint : 1
; COMPUTE_PGM_RSRC2:SCRATCH_EN: 0
; COMPUTE_PGM_RSRC2:USER_SGPR: 6
; COMPUTE_PGM_RSRC2:TRAP_HANDLER: 0
; COMPUTE_PGM_RSRC2:TGID_X_EN: 1
; COMPUTE_PGM_RSRC2:TGID_Y_EN: 1
; COMPUTE_PGM_RSRC2:TGID_Z_EN: 1
; COMPUTE_PGM_RSRC2:TIDIG_COMP_CNT: 0
; COMPUTE_PGM_RSRC3_GFX90A:ACCUM_OFFSET: 4
; COMPUTE_PGM_RSRC3_GFX90A:TG_SPLIT: 0
	.section	.text._ZL10k_get_rowsILi32ELi2EXadL_ZL15dequantize_q5_1PKvliR15HIP_vector_typeIfLj2EEEE14__hip_bfloat16EvS1_PKiPT2_llS2_IjLj3EEmmmmmmmmm,"axG",@progbits,_ZL10k_get_rowsILi32ELi2EXadL_ZL15dequantize_q5_1PKvliR15HIP_vector_typeIfLj2EEEE14__hip_bfloat16EvS1_PKiPT2_llS2_IjLj3EEmmmmmmmmm,comdat
	.globl	_ZL10k_get_rowsILi32ELi2EXadL_ZL15dequantize_q5_1PKvliR15HIP_vector_typeIfLj2EEEE14__hip_bfloat16EvS1_PKiPT2_llS2_IjLj3EEmmmmmmmmm ; -- Begin function _ZL10k_get_rowsILi32ELi2EXadL_ZL15dequantize_q5_1PKvliR15HIP_vector_typeIfLj2EEEE14__hip_bfloat16EvS1_PKiPT2_llS2_IjLj3EEmmmmmmmmm
	.p2align	8
	.type	_ZL10k_get_rowsILi32ELi2EXadL_ZL15dequantize_q5_1PKvliR15HIP_vector_typeIfLj2EEEE14__hip_bfloat16EvS1_PKiPT2_llS2_IjLj3EEmmmmmmmmm,@function
_ZL10k_get_rowsILi32ELi2EXadL_ZL15dequantize_q5_1PKvliR15HIP_vector_typeIfLj2EEEE14__hip_bfloat16EvS1_PKiPT2_llS2_IjLj3EEmmmmmmmmm: ; @_ZL10k_get_rowsILi32ELi2EXadL_ZL15dequantize_q5_1PKvliR15HIP_vector_typeIfLj2EEEE14__hip_bfloat16EvS1_PKiPT2_llS2_IjLj3EEmmmmmmmmm
; %bb.0:
	s_load_dwordx4 s[28:31], s[4:5], 0x18
	s_load_dwordx2 s[2:3], s[4:5], 0x2c
	s_mov_b32 s9, 0
	v_pk_mov_b32 v[2:3], s[8:9], s[8:9] op_sel:[0,1]
	s_waitcnt lgkmcnt(0)
	s_mul_i32 s0, s3, s31
	s_mul_hi_u32 s1, s3, s30
	s_add_i32 s35, s1, s0
	s_mul_i32 s34, s3, s30
	v_cmp_le_i64_e32 vcc, s[34:35], v[2:3]
	s_cbranch_vccnz .LBB38_14
; %bb.1:
	s_load_dwordx4 s[36:39], s[4:5], 0x0
	s_load_dwordx2 s[40:41], s[4:5], 0x10
	s_load_dwordx2 s[10:11], s[4:5], 0x78
	;; [unrolled: 1-line block ×3, first 2 shown]
	s_load_dword s33, s[4:5], 0x28
	s_load_dwordx16 s[12:27], s[4:5], 0x38
	s_add_u32 s4, s4, 0x80
	s_addc_u32 s5, s5, 0
	s_waitcnt lgkmcnt(0)
	s_and_b32 s31, s31, 0xffff
	s_mul_i32 s7, s7, s31
	v_add_lshl_u32 v0, s7, v0, 1
	s_ashr_i32 s7, s6, 31
	s_mul_i32 s25, s6, s25
	s_mul_hi_u32 s42, s6, s24
	s_add_i32 s25, s42, s25
	s_mul_i32 s42, s7, s24
	s_add_i32 s25, s25, s42
	s_mul_i32 s24, s6, s24
	s_lshl_b64 s[24:25], s[24:25], 2
	s_add_u32 s42, s38, s24
	s_mul_i32 s13, s6, s13
	s_mul_hi_u32 s24, s6, s12
	s_addc_u32 s43, s39, s25
	s_add_i32 s13, s24, s13
	s_mul_i32 s7, s7, s12
	s_add_i32 s7, s13, s7
	s_mul_i32 s6, s6, s12
	s_lshl_b64 s[6:7], s[6:7], 1
	v_mov_b32_e32 v1, 0
	s_add_u32 s44, s40, s6
	v_cmp_gt_i64_e64 s[0:1], s[28:29], v[0:1]
	s_addc_u32 s45, s41, s7
	v_lshlrev_b64 v[2:3], 27, v[0:1]
	s_mov_b32 s46, 0x7f800000
	s_movk_i32 s47, 0x7fff
	s_movk_i32 s48, 0xffe0
	v_pk_mov_b32 v[4:5], s[34:35], s[34:35] op_sel:[0,1]
	s_mov_b64 s[6:7], s[8:9]
	s_branch .LBB38_3
.LBB38_2:                               ;   in Loop: Header=BB38_3 Depth=1
	s_or_b64 exec, exec, s[12:13]
	s_add_u32 s6, s6, s30
	s_addc_u32 s7, s7, 0
	v_cmp_ge_i64_e32 vcc, s[6:7], v[4:5]
	s_cbranch_vccnz .LBB38_14
.LBB38_3:                               ; =>This Loop Header: Depth=1
                                        ;     Child Loop BB38_6 Depth 2
	s_and_saveexec_b64 s[12:13], s[0:1]
	s_cbranch_execz .LBB38_2
; %bb.4:                                ;   in Loop: Header=BB38_3 Depth=1
	s_mul_hi_u32 s8, s6, s33
	s_add_i32 s8, s8, s6
	s_lshr_b32 s8, s8, s2
	s_mul_i32 s24, s8, s3
	s_sub_i32 s38, s6, s24
	s_ashr_i32 s39, s8, 31
	s_mul_i32 s24, s8, s27
	s_mul_hi_u32 s25, s8, s26
	s_add_i32 s24, s25, s24
	s_mul_i32 s25, s39, s26
	s_ashr_i32 s40, s38, 31
	s_mul_i32 s34, s38, s11
	s_mul_hi_u32 s35, s38, s10
	s_add_i32 s25, s24, s25
	s_mul_i32 s24, s8, s26
	s_add_i32 s34, s35, s34
	s_mul_i32 s35, s40, s10
	s_add_i32 s35, s34, s35
	s_lshl_b64 s[24:25], s[24:25], 2
	s_mul_i32 s34, s38, s10
	s_add_u32 s41, s42, s24
	s_addc_u32 s49, s43, s25
	s_lshl_b64 s[24:25], s[34:35], 2
	s_add_u32 s24, s41, s24
	s_addc_u32 s25, s49, s25
	s_load_dword s34, s[24:25], 0x0
	s_mul_i32 s24, s8, s15
	s_mul_hi_u32 s25, s8, s14
	s_add_i32 s24, s25, s24
	s_mul_i32 s25, s39, s14
	s_add_i32 s25, s24, s25
	s_mul_i32 s24, s8, s14
	s_waitcnt lgkmcnt(0)
	s_ashr_i32 s35, s34, 31
	s_lshl_b64 s[24:25], s[24:25], 1
	s_add_u32 s41, s44, s24
	s_addc_u32 s50, s45, s25
	s_mul_i32 s24, s38, s17
	s_mul_hi_u32 s25, s38, s16
	s_add_i32 s24, s25, s24
	s_mul_i32 s25, s40, s16
	s_add_i32 s25, s24, s25
	s_mul_i32 s24, s38, s16
	s_lshl_b64 s[24:25], s[24:25], 1
	s_add_u32 s49, s41, s24
	s_addc_u32 s41, s50, s25
	s_mul_i32 s24, s34, s19
	s_mul_hi_u32 s25, s34, s18
	s_add_i32 s24, s25, s24
	s_mul_i32 s35, s35, s18
	s_add_i32 s24, s24, s35
	s_mul_i32 s34, s34, s18
	s_add_u32 s25, s36, s34
	s_mul_i32 s34, s8, s21
	s_mul_hi_u32 s35, s8, s20
	s_addc_u32 s24, s37, s24
	s_add_i32 s34, s35, s34
	s_mul_i32 s39, s39, s20
	s_add_i32 s34, s34, s39
	s_mul_i32 s8, s8, s20
	s_add_u32 s8, s25, s8
	s_addc_u32 s25, s24, s34
	s_mul_i32 s24, s38, s23
	s_mul_hi_u32 s34, s38, s22
	s_add_i32 s24, s34, s24
	s_load_dword s34, s[4:5], 0x4
	s_mul_i32 s40, s40, s22
	s_add_i32 s35, s24, s40
	s_mul_i32 s38, s38, s22
	s_add_u32 s24, s8, s38
	s_waitcnt lgkmcnt(0)
	s_mul_i32 s8, s34, s31
	s_addc_u32 s25, s25, s35
	s_lshl_b64 s[34:35], s[8:9], 27
	s_mov_b64 s[38:39], 0
	v_mov_b32_e32 v12, s41
	v_mov_b32_e32 v13, s9
	;; [unrolled: 1-line block ×3, first 2 shown]
	v_pk_mov_b32 v[6:7], v[2:3], v[2:3] op_sel:[0,1]
	v_pk_mov_b32 v[8:9], v[0:1], v[0:1] op_sel:[0,1]
	s_branch .LBB38_6
.LBB38_5:                               ;   in Loop: Header=BB38_6 Depth=2
	s_or_b64 exec, exec, s[40:41]
	v_add_co_u32_e32 v8, vcc, s8, v8
	v_addc_co_u32_e32 v9, vcc, v9, v13, vcc
	v_cmp_le_i64_e32 vcc, s[28:29], v[8:9]
	s_or_b64 s[38:39], vcc, s[38:39]
	v_add_co_u32_e32 v6, vcc, s34, v6
	v_addc_co_u32_e32 v7, vcc, v7, v14, vcc
	global_store_short_d16_hi v[10:11], v16, off offset:32
	s_andn2_b64 exec, exec, s[38:39]
	s_cbranch_execz .LBB38_2
.LBB38_6:                               ;   Parent Loop BB38_3 Depth=1
                                        ; =>  This Inner Loop Header: Depth=2
	v_mad_i64_i32 v[16:17], s[40:41], v7, 24, s[24:25]
	global_load_ushort v20, v[16:17], off offset:6
	global_load_ushort v21, v[16:17], off offset:4
	v_bfe_u32 v10, v8, 1, 4
	v_add_co_u32_e32 v18, vcc, v16, v10
	v_addc_co_u32_e32 v19, vcc, 0, v17, vcc
	global_load_ubyte v11, v[18:19], off offset:8
	global_load_dword v15, v[16:17], off
	s_waitcnt vmcnt(3)
	v_lshrrev_b16_e32 v16, 8, v20
	v_and_b32_e32 v17, 0xff, v20
	v_lshlrev_b32_e32 v16, 24, v16
	v_lshlrev_b32_e32 v17, 16, v17
	s_waitcnt vmcnt(2)
	v_or3_b32 v16, v17, v21, v16
	v_lshrrev_b32_e32 v17, v10, v16
	v_lshlrev_b32_e32 v17, 4, v17
	s_waitcnt vmcnt(1)
	v_and_b32_e32 v18, 15, v11
	v_and_or_b32 v17, v17, 16, v18
	v_cvt_f32_ubyte0_e32 v17, v17
	s_waitcnt vmcnt(0)
	v_fma_mix_f32 v18, v15, v17, v15 op_sel:[0,0,1] op_sel_hi:[1,0,1]
	v_and_b32_e32 v17, 0x7f800000, v18
	v_cmp_ne_u32_e32 vcc, s46, v17
                                        ; implicit-def: $vgpr17
	s_and_saveexec_b64 s[40:41], vcc
	s_xor_b64 s[40:41], exec, s[40:41]
; %bb.7:                                ;   in Loop: Header=BB38_6 Depth=2
	v_bfe_u32 v17, v18, 16, 1
	v_add3_u32 v17, v18, v17, s47
                                        ; implicit-def: $vgpr18
; %bb.8:                                ;   in Loop: Header=BB38_6 Depth=2
	s_andn2_saveexec_b64 s[40:41], s[40:41]
; %bb.9:                                ;   in Loop: Header=BB38_6 Depth=2
	v_or_b32_e32 v17, 0x10000, v18
	v_cmp_eq_u32_sdwa vcc, v18, v1 src0_sel:WORD_0 src1_sel:DWORD
	v_cndmask_b32_e32 v17, v17, v18, vcc
; %bb.10:                               ;   in Loop: Header=BB38_6 Depth=2
	s_or_b64 exec, exec, s[40:41]
	v_cvt_f32_f16_e32 v18, v15
	v_cvt_f32_f16_sdwa v15, v15 dst_sel:DWORD dst_unused:UNUSED_PAD src0_sel:WORD_1
	v_add_u32_e32 v19, 12, v10
	v_lshrrev_b32_e32 v16, v19, v16
	v_lshrrev_b16_e32 v11, 4, v11
	v_and_or_b32 v11, v16, 16, v11
	v_cvt_f32_ubyte0_e32 v11, v11
	v_and_or_b32 v10, v8, s48, v10
	v_fmac_f32_e32 v15, v18, v11
	v_ashrrev_i32_e32 v11, 31, v10
	v_lshlrev_b64 v[10:11], 1, v[10:11]
	v_add_co_u32_e32 v10, vcc, s49, v10
	v_addc_co_u32_e32 v11, vcc, v12, v11, vcc
	v_and_b32_e32 v16, 0x7f800000, v15
	v_cmp_ne_u32_e32 vcc, s46, v16
	global_store_short_d16_hi v[10:11], v17, off
                                        ; implicit-def: $vgpr16
	s_and_saveexec_b64 s[40:41], vcc
	s_xor_b64 s[40:41], exec, s[40:41]
; %bb.11:                               ;   in Loop: Header=BB38_6 Depth=2
	v_bfe_u32 v16, v15, 16, 1
	v_add3_u32 v16, v15, v16, s47
                                        ; implicit-def: $vgpr15
; %bb.12:                               ;   in Loop: Header=BB38_6 Depth=2
	s_andn2_saveexec_b64 s[40:41], s[40:41]
	s_cbranch_execz .LBB38_5
; %bb.13:                               ;   in Loop: Header=BB38_6 Depth=2
	v_or_b32_e32 v16, 0x10000, v15
	v_cmp_eq_u32_sdwa vcc, v15, v1 src0_sel:WORD_0 src1_sel:DWORD
	v_cndmask_b32_e32 v16, v16, v15, vcc
	s_branch .LBB38_5
.LBB38_14:
	s_endpgm
	.section	.rodata,"a",@progbits
	.p2align	6, 0x0
	.amdhsa_kernel _ZL10k_get_rowsILi32ELi2EXadL_ZL15dequantize_q5_1PKvliR15HIP_vector_typeIfLj2EEEE14__hip_bfloat16EvS1_PKiPT2_llS2_IjLj3EEmmmmmmmmm
		.amdhsa_group_segment_fixed_size 0
		.amdhsa_private_segment_fixed_size 0
		.amdhsa_kernarg_size 384
		.amdhsa_user_sgpr_count 6
		.amdhsa_user_sgpr_private_segment_buffer 1
		.amdhsa_user_sgpr_dispatch_ptr 0
		.amdhsa_user_sgpr_queue_ptr 0
		.amdhsa_user_sgpr_kernarg_segment_ptr 1
		.amdhsa_user_sgpr_dispatch_id 0
		.amdhsa_user_sgpr_flat_scratch_init 0
		.amdhsa_user_sgpr_kernarg_preload_length 0
		.amdhsa_user_sgpr_kernarg_preload_offset 0
		.amdhsa_user_sgpr_private_segment_size 0
		.amdhsa_uses_dynamic_stack 0
		.amdhsa_system_sgpr_private_segment_wavefront_offset 0
		.amdhsa_system_sgpr_workgroup_id_x 1
		.amdhsa_system_sgpr_workgroup_id_y 1
		.amdhsa_system_sgpr_workgroup_id_z 1
		.amdhsa_system_sgpr_workgroup_info 0
		.amdhsa_system_vgpr_workitem_id 0
		.amdhsa_next_free_vgpr 22
		.amdhsa_next_free_sgpr 51
		.amdhsa_accum_offset 24
		.amdhsa_reserve_vcc 1
		.amdhsa_reserve_flat_scratch 0
		.amdhsa_float_round_mode_32 0
		.amdhsa_float_round_mode_16_64 0
		.amdhsa_float_denorm_mode_32 3
		.amdhsa_float_denorm_mode_16_64 3
		.amdhsa_dx10_clamp 1
		.amdhsa_ieee_mode 1
		.amdhsa_fp16_overflow 0
		.amdhsa_tg_split 0
		.amdhsa_exception_fp_ieee_invalid_op 0
		.amdhsa_exception_fp_denorm_src 0
		.amdhsa_exception_fp_ieee_div_zero 0
		.amdhsa_exception_fp_ieee_overflow 0
		.amdhsa_exception_fp_ieee_underflow 0
		.amdhsa_exception_fp_ieee_inexact 0
		.amdhsa_exception_int_div_zero 0
	.end_amdhsa_kernel
	.section	.text._ZL10k_get_rowsILi32ELi2EXadL_ZL15dequantize_q5_1PKvliR15HIP_vector_typeIfLj2EEEE14__hip_bfloat16EvS1_PKiPT2_llS2_IjLj3EEmmmmmmmmm,"axG",@progbits,_ZL10k_get_rowsILi32ELi2EXadL_ZL15dequantize_q5_1PKvliR15HIP_vector_typeIfLj2EEEE14__hip_bfloat16EvS1_PKiPT2_llS2_IjLj3EEmmmmmmmmm,comdat
.Lfunc_end38:
	.size	_ZL10k_get_rowsILi32ELi2EXadL_ZL15dequantize_q5_1PKvliR15HIP_vector_typeIfLj2EEEE14__hip_bfloat16EvS1_PKiPT2_llS2_IjLj3EEmmmmmmmmm, .Lfunc_end38-_ZL10k_get_rowsILi32ELi2EXadL_ZL15dequantize_q5_1PKvliR15HIP_vector_typeIfLj2EEEE14__hip_bfloat16EvS1_PKiPT2_llS2_IjLj3EEmmmmmmmmm
                                        ; -- End function
	.section	.AMDGPU.csdata,"",@progbits
; Kernel info:
; codeLenInByte = 1024
; NumSgprs: 55
; NumVgprs: 22
; NumAgprs: 0
; TotalNumVgprs: 22
; ScratchSize: 0
; MemoryBound: 0
; FloatMode: 240
; IeeeMode: 1
; LDSByteSize: 0 bytes/workgroup (compile time only)
; SGPRBlocks: 6
; VGPRBlocks: 2
; NumSGPRsForWavesPerEU: 55
; NumVGPRsForWavesPerEU: 22
; AccumOffset: 24
; Occupancy: 8
; WaveLimiterHint : 1
; COMPUTE_PGM_RSRC2:SCRATCH_EN: 0
; COMPUTE_PGM_RSRC2:USER_SGPR: 6
; COMPUTE_PGM_RSRC2:TRAP_HANDLER: 0
; COMPUTE_PGM_RSRC2:TGID_X_EN: 1
; COMPUTE_PGM_RSRC2:TGID_Y_EN: 1
; COMPUTE_PGM_RSRC2:TGID_Z_EN: 1
; COMPUTE_PGM_RSRC2:TIDIG_COMP_CNT: 0
; COMPUTE_PGM_RSRC3_GFX90A:ACCUM_OFFSET: 5
; COMPUTE_PGM_RSRC3_GFX90A:TG_SPLIT: 0
	.section	.text._ZL10k_get_rowsILi32ELi1EXadL_ZL15dequantize_q8_0PKvliR15HIP_vector_typeIfLj2EEEE14__hip_bfloat16EvS1_PKiPT2_llS2_IjLj3EEmmmmmmmmm,"axG",@progbits,_ZL10k_get_rowsILi32ELi1EXadL_ZL15dequantize_q8_0PKvliR15HIP_vector_typeIfLj2EEEE14__hip_bfloat16EvS1_PKiPT2_llS2_IjLj3EEmmmmmmmmm,comdat
	.globl	_ZL10k_get_rowsILi32ELi1EXadL_ZL15dequantize_q8_0PKvliR15HIP_vector_typeIfLj2EEEE14__hip_bfloat16EvS1_PKiPT2_llS2_IjLj3EEmmmmmmmmm ; -- Begin function _ZL10k_get_rowsILi32ELi1EXadL_ZL15dequantize_q8_0PKvliR15HIP_vector_typeIfLj2EEEE14__hip_bfloat16EvS1_PKiPT2_llS2_IjLj3EEmmmmmmmmm
	.p2align	8
	.type	_ZL10k_get_rowsILi32ELi1EXadL_ZL15dequantize_q8_0PKvliR15HIP_vector_typeIfLj2EEEE14__hip_bfloat16EvS1_PKiPT2_llS2_IjLj3EEmmmmmmmmm,@function
_ZL10k_get_rowsILi32ELi1EXadL_ZL15dequantize_q8_0PKvliR15HIP_vector_typeIfLj2EEEE14__hip_bfloat16EvS1_PKiPT2_llS2_IjLj3EEmmmmmmmmm: ; @_ZL10k_get_rowsILi32ELi1EXadL_ZL15dequantize_q8_0PKvliR15HIP_vector_typeIfLj2EEEE14__hip_bfloat16EvS1_PKiPT2_llS2_IjLj3EEmmmmmmmmm
; %bb.0:
	s_load_dwordx4 s[28:31], s[4:5], 0x18
	s_load_dwordx2 s[2:3], s[4:5], 0x2c
	s_mov_b32 s9, 0
	v_pk_mov_b32 v[2:3], s[8:9], s[8:9] op_sel:[0,1]
	s_waitcnt lgkmcnt(0)
	s_mul_i32 s0, s3, s31
	s_mul_hi_u32 s1, s3, s30
	s_add_i32 s35, s1, s0
	s_mul_i32 s34, s3, s30
	v_cmp_le_i64_e32 vcc, s[34:35], v[2:3]
	s_cbranch_vccnz .LBB39_14
; %bb.1:
	s_load_dwordx4 s[36:39], s[4:5], 0x0
	s_load_dwordx2 s[40:41], s[4:5], 0x10
	s_load_dwordx2 s[10:11], s[4:5], 0x78
	;; [unrolled: 1-line block ×3, first 2 shown]
	s_load_dword s33, s[4:5], 0x28
	s_load_dwordx16 s[12:27], s[4:5], 0x38
	s_add_u32 s4, s4, 0x80
	s_addc_u32 s5, s5, 0
	s_waitcnt lgkmcnt(0)
	s_and_b32 s31, s31, 0xffff
	s_mul_i32 s7, s7, s31
	v_add_lshl_u32 v0, s7, v0, 1
	s_ashr_i32 s7, s6, 31
	s_mul_i32 s25, s6, s25
	s_mul_hi_u32 s42, s6, s24
	s_add_i32 s25, s42, s25
	s_mul_i32 s42, s7, s24
	s_add_i32 s25, s25, s42
	s_mul_i32 s24, s6, s24
	s_lshl_b64 s[24:25], s[24:25], 2
	s_add_u32 s42, s38, s24
	s_mul_i32 s13, s6, s13
	s_mul_hi_u32 s24, s6, s12
	s_addc_u32 s43, s39, s25
	s_add_i32 s13, s24, s13
	s_mul_i32 s7, s7, s12
	s_add_i32 s7, s13, s7
	s_mul_i32 s6, s6, s12
	s_lshl_b64 s[6:7], s[6:7], 1
	v_mov_b32_e32 v1, 0
	s_add_u32 s44, s40, s6
	v_cmp_gt_i64_e64 s[0:1], s[28:29], v[0:1]
	s_addc_u32 s45, s41, s7
	v_lshlrev_b64 v[2:3], 27, v[0:1]
	v_mov_b32_e32 v4, v1
	v_mov_b32_e32 v5, v0
	s_mov_b32 s46, 0x7f800000
	s_movk_i32 s47, 0x7fff
	v_pk_mov_b32 v[6:7], s[34:35], s[34:35] op_sel:[0,1]
	s_mov_b64 s[6:7], s[8:9]
	s_branch .LBB39_3
.LBB39_2:                               ;   in Loop: Header=BB39_3 Depth=1
	s_or_b64 exec, exec, s[12:13]
	s_add_u32 s6, s6, s30
	s_addc_u32 s7, s7, 0
	v_cmp_ge_i64_e32 vcc, s[6:7], v[6:7]
	s_cbranch_vccnz .LBB39_14
.LBB39_3:                               ; =>This Loop Header: Depth=1
                                        ;     Child Loop BB39_6 Depth 2
	s_and_saveexec_b64 s[12:13], s[0:1]
	s_cbranch_execz .LBB39_2
; %bb.4:                                ;   in Loop: Header=BB39_3 Depth=1
	s_mul_hi_u32 s8, s6, s33
	s_add_i32 s8, s8, s6
	s_lshr_b32 s8, s8, s2
	s_mul_i32 s24, s8, s3
	s_sub_i32 s38, s6, s24
	s_ashr_i32 s39, s8, 31
	s_mul_i32 s24, s8, s27
	s_mul_hi_u32 s25, s8, s26
	s_add_i32 s24, s25, s24
	s_mul_i32 s25, s39, s26
	s_ashr_i32 s40, s38, 31
	s_mul_i32 s34, s38, s11
	s_mul_hi_u32 s35, s38, s10
	s_add_i32 s25, s24, s25
	s_mul_i32 s24, s8, s26
	s_add_i32 s34, s35, s34
	s_mul_i32 s35, s40, s10
	s_add_i32 s35, s34, s35
	s_lshl_b64 s[24:25], s[24:25], 2
	s_mul_i32 s34, s38, s10
	s_add_u32 s41, s42, s24
	s_addc_u32 s48, s43, s25
	s_lshl_b64 s[24:25], s[34:35], 2
	s_add_u32 s24, s41, s24
	s_addc_u32 s25, s48, s25
	s_load_dword s34, s[24:25], 0x0
	s_mul_i32 s24, s8, s15
	s_mul_hi_u32 s25, s8, s14
	s_add_i32 s24, s25, s24
	s_mul_i32 s25, s39, s14
	s_add_i32 s25, s24, s25
	s_mul_i32 s24, s8, s14
	s_waitcnt lgkmcnt(0)
	s_ashr_i32 s35, s34, 31
	s_lshl_b64 s[24:25], s[24:25], 1
	s_add_u32 s41, s44, s24
	s_addc_u32 s49, s45, s25
	s_mul_i32 s24, s38, s17
	s_mul_hi_u32 s25, s38, s16
	s_add_i32 s24, s25, s24
	s_mul_i32 s25, s40, s16
	s_add_i32 s25, s24, s25
	s_mul_i32 s24, s38, s16
	s_lshl_b64 s[24:25], s[24:25], 1
	s_add_u32 s48, s41, s24
	s_addc_u32 s41, s49, s25
	s_mul_i32 s24, s34, s19
	s_mul_hi_u32 s25, s34, s18
	s_add_i32 s24, s25, s24
	s_mul_i32 s35, s35, s18
	s_add_i32 s24, s24, s35
	s_mul_i32 s34, s34, s18
	s_add_u32 s25, s36, s34
	s_mul_i32 s34, s8, s21
	s_mul_hi_u32 s35, s8, s20
	s_addc_u32 s24, s37, s24
	s_add_i32 s34, s35, s34
	s_mul_i32 s39, s39, s20
	s_add_i32 s34, s34, s39
	s_mul_i32 s8, s8, s20
	s_add_u32 s8, s25, s8
	s_addc_u32 s25, s24, s34
	s_mul_i32 s24, s38, s23
	s_mul_hi_u32 s34, s38, s22
	s_add_i32 s24, s34, s24
	s_load_dword s34, s[4:5], 0x4
	s_mul_i32 s40, s40, s22
	s_add_i32 s35, s24, s40
	s_mul_i32 s38, s38, s22
	s_add_u32 s24, s8, s38
	s_waitcnt lgkmcnt(0)
	s_mul_i32 s8, s34, s31
	s_addc_u32 s25, s25, s35
	s_lshl_b64 s[34:35], s[8:9], 27
	s_mov_b64 s[38:39], 0
	v_mov_b32_e32 v16, s41
	v_mov_b32_e32 v17, s9
	;; [unrolled: 1-line block ×4, first 2 shown]
	v_pk_mov_b32 v[8:9], v[4:5], v[4:5] op_sel:[0,1]
	v_pk_mov_b32 v[10:11], v[2:3], v[2:3] op_sel:[0,1]
	;; [unrolled: 1-line block ×3, first 2 shown]
	s_branch .LBB39_6
.LBB39_5:                               ;   in Loop: Header=BB39_6 Depth=2
	s_or_b64 exec, exec, s[40:41]
	v_add_co_u32_e32 v12, vcc, s8, v12
	v_addc_co_u32_e32 v13, vcc, v13, v17, vcc
	v_add_co_u32_e32 v10, vcc, s34, v10
	v_addc_co_u32_e32 v11, vcc, v11, v18, vcc
	v_cmp_le_i64_e32 vcc, s[28:29], v[12:13]
	s_or_b64 s[38:39], vcc, s[38:39]
	v_add_co_u32_e32 v8, vcc, 0, v8
	v_addc_co_u32_e32 v9, vcc, v9, v19, vcc
	global_store_short_d16_hi v[14:15], v20, off offset:2
	s_andn2_b64 exec, exec, s[38:39]
	s_cbranch_execz .LBB39_2
.LBB39_6:                               ;   Parent Loop BB39_3 Depth=1
                                        ; =>  This Inner Loop Header: Depth=2
	v_and_b32_e32 v14, 31, v12
	v_mad_i64_i32 v[20:21], s[40:41], v11, 34, s[24:25]
	v_add_co_u32_e32 v22, vcc, v20, v14
	v_addc_co_u32_e32 v23, vcc, 0, v21, vcc
	global_load_ushort v14, v[20:21], off
	global_load_sbyte v24, v[22:23], off offset:2
	global_load_ubyte v15, v[22:23], off offset:3
	s_waitcnt vmcnt(2)
	v_cvt_f32_f16_e32 v14, v14
	s_waitcnt vmcnt(1)
	v_cvt_f32_i32_e32 v20, v24
	v_mul_f32_e32 v21, v14, v20
	v_and_b32_e32 v20, 0x7f800000, v21
	v_cmp_ne_u32_e32 vcc, s46, v20
                                        ; implicit-def: $vgpr20
	s_and_saveexec_b64 s[40:41], vcc
	s_xor_b64 s[40:41], exec, s[40:41]
; %bb.7:                                ;   in Loop: Header=BB39_6 Depth=2
	v_bfe_u32 v20, v21, 16, 1
	v_add3_u32 v20, v21, v20, s47
                                        ; implicit-def: $vgpr21
; %bb.8:                                ;   in Loop: Header=BB39_6 Depth=2
	s_andn2_saveexec_b64 s[40:41], s[40:41]
; %bb.9:                                ;   in Loop: Header=BB39_6 Depth=2
	v_or_b32_e32 v20, 0x10000, v21
	v_cmp_eq_u32_sdwa vcc, v21, v1 src0_sel:WORD_0 src1_sel:DWORD
	v_cndmask_b32_e32 v20, v20, v21, vcc
; %bb.10:                               ;   in Loop: Header=BB39_6 Depth=2
	s_or_b64 exec, exec, s[40:41]
	s_waitcnt vmcnt(0)
	v_bfe_i32 v15, v15, 0, 8
	v_cvt_f32_i32_sdwa v15, sext(v15) dst_sel:DWORD dst_unused:UNUSED_PAD src0_sel:WORD_0
	v_ashrrev_i64 v[22:23], 31, v[8:9]
	v_mul_f32_e32 v21, v14, v15
	v_add_co_u32_e32 v14, vcc, s48, v22
	v_addc_co_u32_e32 v15, vcc, v16, v23, vcc
	global_store_short_d16_hi v[14:15], v20, off
	v_and_b32_e32 v20, 0x7f800000, v21
	v_cmp_ne_u32_e32 vcc, s46, v20
                                        ; implicit-def: $vgpr20
	s_and_saveexec_b64 s[40:41], vcc
	s_xor_b64 s[40:41], exec, s[40:41]
; %bb.11:                               ;   in Loop: Header=BB39_6 Depth=2
	v_bfe_u32 v20, v21, 16, 1
	v_add3_u32 v20, v21, v20, s47
                                        ; implicit-def: $vgpr21
; %bb.12:                               ;   in Loop: Header=BB39_6 Depth=2
	s_andn2_saveexec_b64 s[40:41], s[40:41]
	s_cbranch_execz .LBB39_5
; %bb.13:                               ;   in Loop: Header=BB39_6 Depth=2
	v_or_b32_e32 v20, 0x10000, v21
	v_cmp_eq_u32_sdwa vcc, v21, v1 src0_sel:WORD_0 src1_sel:DWORD
	v_cndmask_b32_e32 v20, v20, v21, vcc
	s_branch .LBB39_5
.LBB39_14:
	s_endpgm
	.section	.rodata,"a",@progbits
	.p2align	6, 0x0
	.amdhsa_kernel _ZL10k_get_rowsILi32ELi1EXadL_ZL15dequantize_q8_0PKvliR15HIP_vector_typeIfLj2EEEE14__hip_bfloat16EvS1_PKiPT2_llS2_IjLj3EEmmmmmmmmm
		.amdhsa_group_segment_fixed_size 0
		.amdhsa_private_segment_fixed_size 0
		.amdhsa_kernarg_size 384
		.amdhsa_user_sgpr_count 6
		.amdhsa_user_sgpr_private_segment_buffer 1
		.amdhsa_user_sgpr_dispatch_ptr 0
		.amdhsa_user_sgpr_queue_ptr 0
		.amdhsa_user_sgpr_kernarg_segment_ptr 1
		.amdhsa_user_sgpr_dispatch_id 0
		.amdhsa_user_sgpr_flat_scratch_init 0
		.amdhsa_user_sgpr_kernarg_preload_length 0
		.amdhsa_user_sgpr_kernarg_preload_offset 0
		.amdhsa_user_sgpr_private_segment_size 0
		.amdhsa_uses_dynamic_stack 0
		.amdhsa_system_sgpr_private_segment_wavefront_offset 0
		.amdhsa_system_sgpr_workgroup_id_x 1
		.amdhsa_system_sgpr_workgroup_id_y 1
		.amdhsa_system_sgpr_workgroup_id_z 1
		.amdhsa_system_sgpr_workgroup_info 0
		.amdhsa_system_vgpr_workitem_id 0
		.amdhsa_next_free_vgpr 25
		.amdhsa_next_free_sgpr 50
		.amdhsa_accum_offset 28
		.amdhsa_reserve_vcc 1
		.amdhsa_reserve_flat_scratch 0
		.amdhsa_float_round_mode_32 0
		.amdhsa_float_round_mode_16_64 0
		.amdhsa_float_denorm_mode_32 3
		.amdhsa_float_denorm_mode_16_64 3
		.amdhsa_dx10_clamp 1
		.amdhsa_ieee_mode 1
		.amdhsa_fp16_overflow 0
		.amdhsa_tg_split 0
		.amdhsa_exception_fp_ieee_invalid_op 0
		.amdhsa_exception_fp_denorm_src 0
		.amdhsa_exception_fp_ieee_div_zero 0
		.amdhsa_exception_fp_ieee_overflow 0
		.amdhsa_exception_fp_ieee_underflow 0
		.amdhsa_exception_fp_ieee_inexact 0
		.amdhsa_exception_int_div_zero 0
	.end_amdhsa_kernel
	.section	.text._ZL10k_get_rowsILi32ELi1EXadL_ZL15dequantize_q8_0PKvliR15HIP_vector_typeIfLj2EEEE14__hip_bfloat16EvS1_PKiPT2_llS2_IjLj3EEmmmmmmmmm,"axG",@progbits,_ZL10k_get_rowsILi32ELi1EXadL_ZL15dequantize_q8_0PKvliR15HIP_vector_typeIfLj2EEEE14__hip_bfloat16EvS1_PKiPT2_llS2_IjLj3EEmmmmmmmmm,comdat
.Lfunc_end39:
	.size	_ZL10k_get_rowsILi32ELi1EXadL_ZL15dequantize_q8_0PKvliR15HIP_vector_typeIfLj2EEEE14__hip_bfloat16EvS1_PKiPT2_llS2_IjLj3EEmmmmmmmmm, .Lfunc_end39-_ZL10k_get_rowsILi32ELi1EXadL_ZL15dequantize_q8_0PKvliR15HIP_vector_typeIfLj2EEEE14__hip_bfloat16EvS1_PKiPT2_llS2_IjLj3EEmmmmmmmmm
                                        ; -- End function
	.section	.AMDGPU.csdata,"",@progbits
; Kernel info:
; codeLenInByte = 952
; NumSgprs: 54
; NumVgprs: 25
; NumAgprs: 0
; TotalNumVgprs: 25
; ScratchSize: 0
; MemoryBound: 0
; FloatMode: 240
; IeeeMode: 1
; LDSByteSize: 0 bytes/workgroup (compile time only)
; SGPRBlocks: 6
; VGPRBlocks: 3
; NumSGPRsForWavesPerEU: 54
; NumVGPRsForWavesPerEU: 25
; AccumOffset: 28
; Occupancy: 8
; WaveLimiterHint : 1
; COMPUTE_PGM_RSRC2:SCRATCH_EN: 0
; COMPUTE_PGM_RSRC2:USER_SGPR: 6
; COMPUTE_PGM_RSRC2:TRAP_HANDLER: 0
; COMPUTE_PGM_RSRC2:TGID_X_EN: 1
; COMPUTE_PGM_RSRC2:TGID_Y_EN: 1
; COMPUTE_PGM_RSRC2:TGID_Z_EN: 1
; COMPUTE_PGM_RSRC2:TIDIG_COMP_CNT: 0
; COMPUTE_PGM_RSRC3_GFX90A:ACCUM_OFFSET: 6
; COMPUTE_PGM_RSRC3_GFX90A:TG_SPLIT: 0
	.section	.text._ZL21k_get_rows_back_floatIffEvPKT_PKiPT0_ll,"axG",@progbits,_ZL21k_get_rows_back_floatIffEvPKT_PKiPT0_ll,comdat
	.globl	_ZL21k_get_rows_back_floatIffEvPKT_PKiPT0_ll ; -- Begin function _ZL21k_get_rows_back_floatIffEvPKT_PKiPT0_ll
	.p2align	8
	.type	_ZL21k_get_rows_back_floatIffEvPKT_PKiPT0_ll,@function
_ZL21k_get_rows_back_floatIffEvPKT_PKiPT0_ll: ; @_ZL21k_get_rows_back_floatIffEvPKT_PKiPT0_ll
; %bb.0:
	s_load_dword s8, s[4:5], 0x34
	s_load_dwordx4 s[0:3], s[4:5], 0x18
	s_add_u32 s10, s4, 40
	s_addc_u32 s11, s5, 0
	v_and_b32_e32 v1, 0x3ff, v0
	s_waitcnt lgkmcnt(0)
	s_and_b32 s8, s8, 0xffff
	s_mul_i32 s6, s6, s8
	v_add_u32_e32 v2, s6, v1
	v_ashrrev_i32_e32 v3, 31, v2
	v_cmp_gt_i64_e32 vcc, s[0:1], v[2:3]
	s_and_saveexec_b64 s[8:9], vcc
	s_cbranch_execz .LBB40_8
; %bb.1:
	s_load_dword s6, s[10:11], 0xc
	s_load_dwordx2 s[8:9], s[4:5], 0x10
	v_bfe_u32 v0, v0, 10, 10
	v_cmp_lt_i64_e64 s[10:11], s[2:3], 1
	s_and_b64 vcc, exec, s[10:11]
	s_waitcnt lgkmcnt(0)
	s_lshr_b32 s6, s6, 16
	s_mul_i32 s7, s7, s6
	v_add_u32_e32 v4, s7, v0
	v_lshlrev_b64 v[0:1], 2, v[2:3]
	s_cbranch_vccnz .LBB40_6
; %bb.2:
	s_load_dwordx4 s[4:7], s[4:5], 0x0
	s_lshl_b64 s[10:11], s[0:1], 2
	v_mov_b32_e32 v5, 0
	v_mov_b32_e32 v6, s11
	s_waitcnt lgkmcnt(0)
	v_mov_b32_e32 v3, s5
	v_add_co_u32_e32 v2, vcc, s4, v0
	v_addc_co_u32_e32 v3, vcc, v3, v1, vcc
	s_branch .LBB40_4
.LBB40_3:                               ;   in Loop: Header=BB40_4 Depth=1
	s_or_b64 exec, exec, s[4:5]
	s_add_u32 s2, s2, -1
	s_addc_u32 s3, s3, -1
	s_add_u32 s6, s6, 4
	s_addc_u32 s7, s7, 0
	v_add_co_u32_e32 v2, vcc, s10, v2
	s_cmp_eq_u64 s[2:3], 0
	v_addc_co_u32_e32 v3, vcc, v3, v6, vcc
	s_cbranch_scc1 .LBB40_7
.LBB40_4:                               ; =>This Inner Loop Header: Depth=1
	s_load_dword s4, s[6:7], 0x0
	s_waitcnt lgkmcnt(0)
	v_cmp_eq_u32_e32 vcc, s4, v4
	s_and_saveexec_b64 s[4:5], vcc
	s_cbranch_execz .LBB40_3
; %bb.5:                                ;   in Loop: Header=BB40_4 Depth=1
	global_load_dword v7, v[2:3], off
	s_waitcnt vmcnt(0)
	v_add_f32_e32 v5, v5, v7
	s_branch .LBB40_3
.LBB40_6:
	v_mov_b32_e32 v5, 0
.LBB40_7:
	v_ashrrev_i32_e32 v2, 31, v4
	v_mul_lo_u32 v6, v4, s1
	v_mul_lo_u32 v7, v2, s0
	v_mad_u64_u32 v[2:3], s[0:1], v4, s0, 0
	v_add3_u32 v3, v3, v6, v7
	v_lshlrev_b64 v[2:3], 2, v[2:3]
	v_mov_b32_e32 v4, s9
	v_add_co_u32_e32 v2, vcc, s8, v2
	v_addc_co_u32_e32 v3, vcc, v4, v3, vcc
	v_add_co_u32_e32 v0, vcc, v2, v0
	v_addc_co_u32_e32 v1, vcc, v3, v1, vcc
	global_store_dword v[0:1], v5, off
.LBB40_8:
	s_endpgm
	.section	.rodata,"a",@progbits
	.p2align	6, 0x0
	.amdhsa_kernel _ZL21k_get_rows_back_floatIffEvPKT_PKiPT0_ll
		.amdhsa_group_segment_fixed_size 0
		.amdhsa_private_segment_fixed_size 0
		.amdhsa_kernarg_size 296
		.amdhsa_user_sgpr_count 6
		.amdhsa_user_sgpr_private_segment_buffer 1
		.amdhsa_user_sgpr_dispatch_ptr 0
		.amdhsa_user_sgpr_queue_ptr 0
		.amdhsa_user_sgpr_kernarg_segment_ptr 1
		.amdhsa_user_sgpr_dispatch_id 0
		.amdhsa_user_sgpr_flat_scratch_init 0
		.amdhsa_user_sgpr_kernarg_preload_length 0
		.amdhsa_user_sgpr_kernarg_preload_offset 0
		.amdhsa_user_sgpr_private_segment_size 0
		.amdhsa_uses_dynamic_stack 0
		.amdhsa_system_sgpr_private_segment_wavefront_offset 0
		.amdhsa_system_sgpr_workgroup_id_x 1
		.amdhsa_system_sgpr_workgroup_id_y 1
		.amdhsa_system_sgpr_workgroup_id_z 0
		.amdhsa_system_sgpr_workgroup_info 0
		.amdhsa_system_vgpr_workitem_id 1
		.amdhsa_next_free_vgpr 8
		.amdhsa_next_free_sgpr 12
		.amdhsa_accum_offset 8
		.amdhsa_reserve_vcc 1
		.amdhsa_reserve_flat_scratch 0
		.amdhsa_float_round_mode_32 0
		.amdhsa_float_round_mode_16_64 0
		.amdhsa_float_denorm_mode_32 3
		.amdhsa_float_denorm_mode_16_64 3
		.amdhsa_dx10_clamp 1
		.amdhsa_ieee_mode 1
		.amdhsa_fp16_overflow 0
		.amdhsa_tg_split 0
		.amdhsa_exception_fp_ieee_invalid_op 0
		.amdhsa_exception_fp_denorm_src 0
		.amdhsa_exception_fp_ieee_div_zero 0
		.amdhsa_exception_fp_ieee_overflow 0
		.amdhsa_exception_fp_ieee_underflow 0
		.amdhsa_exception_fp_ieee_inexact 0
		.amdhsa_exception_int_div_zero 0
	.end_amdhsa_kernel
	.section	.text._ZL21k_get_rows_back_floatIffEvPKT_PKiPT0_ll,"axG",@progbits,_ZL21k_get_rows_back_floatIffEvPKT_PKiPT0_ll,comdat
.Lfunc_end40:
	.size	_ZL21k_get_rows_back_floatIffEvPKT_PKiPT0_ll, .Lfunc_end40-_ZL21k_get_rows_back_floatIffEvPKT_PKiPT0_ll
                                        ; -- End function
	.section	.AMDGPU.csdata,"",@progbits
; Kernel info:
; codeLenInByte = 332
; NumSgprs: 16
; NumVgprs: 8
; NumAgprs: 0
; TotalNumVgprs: 8
; ScratchSize: 0
; MemoryBound: 0
; FloatMode: 240
; IeeeMode: 1
; LDSByteSize: 0 bytes/workgroup (compile time only)
; SGPRBlocks: 1
; VGPRBlocks: 0
; NumSGPRsForWavesPerEU: 16
; NumVGPRsForWavesPerEU: 8
; AccumOffset: 8
; Occupancy: 8
; WaveLimiterHint : 0
; COMPUTE_PGM_RSRC2:SCRATCH_EN: 0
; COMPUTE_PGM_RSRC2:USER_SGPR: 6
; COMPUTE_PGM_RSRC2:TRAP_HANDLER: 0
; COMPUTE_PGM_RSRC2:TGID_X_EN: 1
; COMPUTE_PGM_RSRC2:TGID_Y_EN: 1
; COMPUTE_PGM_RSRC2:TGID_Z_EN: 0
; COMPUTE_PGM_RSRC2:TIDIG_COMP_CNT: 1
; COMPUTE_PGM_RSRC3_GFX90A:ACCUM_OFFSET: 1
; COMPUTE_PGM_RSRC3_GFX90A:TG_SPLIT: 0
	.text
	.p2alignl 6, 3212836864
	.fill 256, 4, 3212836864
	.type	__hip_cuid_88ab28fb2bcd20e8,@object ; @__hip_cuid_88ab28fb2bcd20e8
	.section	.bss,"aw",@nobits
	.globl	__hip_cuid_88ab28fb2bcd20e8
__hip_cuid_88ab28fb2bcd20e8:
	.byte	0                               ; 0x0
	.size	__hip_cuid_88ab28fb2bcd20e8, 1

	.ident	"AMD clang version 19.0.0git (https://github.com/RadeonOpenCompute/llvm-project roc-6.4.0 25133 c7fe45cf4b819c5991fe208aaa96edf142730f1d)"
	.section	".note.GNU-stack","",@progbits
	.addrsig
	.addrsig_sym __hip_cuid_88ab28fb2bcd20e8
	.amdgpu_metadata
---
amdhsa.kernels:
  - .agpr_count:     0
    .args:
      - .address_space:  global
        .offset:         0
        .size:           8
        .value_kind:     global_buffer
      - .address_space:  global
        .offset:         8
        .size:           8
        .value_kind:     global_buffer
      - .address_space:  global
        .offset:         16
        .size:           8
        .value_kind:     global_buffer
      - .offset:         24
        .size:           8
        .value_kind:     by_value
      - .offset:         32
        .size:           8
        .value_kind:     by_value
      - .offset:         40
        .size:           12
        .value_kind:     by_value
      - .offset:         56
        .size:           8
        .value_kind:     by_value
      - .offset:         64
        .size:           8
        .value_kind:     by_value
      - .offset:         72
        .size:           8
        .value_kind:     by_value
      - .offset:         80
        .size:           8
        .value_kind:     by_value
      - .offset:         88
        .size:           8
        .value_kind:     by_value
      - .offset:         96
        .size:           8
        .value_kind:     by_value
      - .offset:         104
        .size:           8
        .value_kind:     by_value
      - .offset:         112
        .size:           8
        .value_kind:     by_value
      - .offset:         120
        .size:           8
        .value_kind:     by_value
      - .offset:         128
        .size:           4
        .value_kind:     hidden_block_count_x
      - .offset:         132
        .size:           4
        .value_kind:     hidden_block_count_y
      - .offset:         136
        .size:           4
        .value_kind:     hidden_block_count_z
      - .offset:         140
        .size:           2
        .value_kind:     hidden_group_size_x
      - .offset:         142
        .size:           2
        .value_kind:     hidden_group_size_y
      - .offset:         144
        .size:           2
        .value_kind:     hidden_group_size_z
      - .offset:         146
        .size:           2
        .value_kind:     hidden_remainder_x
      - .offset:         148
        .size:           2
        .value_kind:     hidden_remainder_y
      - .offset:         150
        .size:           2
        .value_kind:     hidden_remainder_z
      - .offset:         168
        .size:           8
        .value_kind:     hidden_global_offset_x
      - .offset:         176
        .size:           8
        .value_kind:     hidden_global_offset_y
      - .offset:         184
        .size:           8
        .value_kind:     hidden_global_offset_z
      - .offset:         192
        .size:           2
        .value_kind:     hidden_grid_dims
    .group_segment_fixed_size: 0
    .kernarg_segment_align: 8
    .kernarg_segment_size: 384
    .language:       OpenCL C
    .language_version:
      - 2
      - 0
    .max_flat_workgroup_size: 1024
    .name:           _ZL16k_get_rows_floatI6__halffEvPKT_PKiPT0_ll15HIP_vector_typeIjLj3EEmmmmmmmmm
    .private_segment_fixed_size: 0
    .sgpr_count:     48
    .sgpr_spill_count: 0
    .symbol:         _ZL16k_get_rows_floatI6__halffEvPKT_PKiPT0_ll15HIP_vector_typeIjLj3EEmmmmmmmmm.kd
    .uniform_work_group_size: 1
    .uses_dynamic_stack: false
    .vgpr_count:     18
    .vgpr_spill_count: 0
    .wavefront_size: 64
  - .agpr_count:     0
    .args:
      - .address_space:  global
        .offset:         0
        .size:           8
        .value_kind:     global_buffer
      - .address_space:  global
        .offset:         8
        .size:           8
        .value_kind:     global_buffer
      - .address_space:  global
        .offset:         16
        .size:           8
        .value_kind:     global_buffer
      - .offset:         24
        .size:           8
        .value_kind:     by_value
      - .offset:         32
        .size:           8
        .value_kind:     by_value
      - .offset:         40
        .size:           12
        .value_kind:     by_value
      - .offset:         56
        .size:           8
        .value_kind:     by_value
      - .offset:         64
        .size:           8
        .value_kind:     by_value
      - .offset:         72
        .size:           8
        .value_kind:     by_value
      - .offset:         80
        .size:           8
        .value_kind:     by_value
      - .offset:         88
        .size:           8
        .value_kind:     by_value
      - .offset:         96
        .size:           8
        .value_kind:     by_value
      - .offset:         104
        .size:           8
        .value_kind:     by_value
      - .offset:         112
        .size:           8
        .value_kind:     by_value
      - .offset:         120
        .size:           8
        .value_kind:     by_value
      - .offset:         128
        .size:           4
        .value_kind:     hidden_block_count_x
      - .offset:         132
        .size:           4
        .value_kind:     hidden_block_count_y
      - .offset:         136
        .size:           4
        .value_kind:     hidden_block_count_z
      - .offset:         140
        .size:           2
        .value_kind:     hidden_group_size_x
      - .offset:         142
        .size:           2
        .value_kind:     hidden_group_size_y
      - .offset:         144
        .size:           2
        .value_kind:     hidden_group_size_z
      - .offset:         146
        .size:           2
        .value_kind:     hidden_remainder_x
      - .offset:         148
        .size:           2
        .value_kind:     hidden_remainder_y
      - .offset:         150
        .size:           2
        .value_kind:     hidden_remainder_z
      - .offset:         168
        .size:           8
        .value_kind:     hidden_global_offset_x
      - .offset:         176
        .size:           8
        .value_kind:     hidden_global_offset_y
      - .offset:         184
        .size:           8
        .value_kind:     hidden_global_offset_z
      - .offset:         192
        .size:           2
        .value_kind:     hidden_grid_dims
    .group_segment_fixed_size: 0
    .kernarg_segment_align: 8
    .kernarg_segment_size: 384
    .language:       OpenCL C
    .language_version:
      - 2
      - 0
    .max_flat_workgroup_size: 1024
    .name:           _ZL16k_get_rows_floatIffEvPKT_PKiPT0_ll15HIP_vector_typeIjLj3EEmmmmmmmmm
    .private_segment_fixed_size: 0
    .sgpr_count:     48
    .sgpr_spill_count: 0
    .symbol:         _ZL16k_get_rows_floatIffEvPKT_PKiPT0_ll15HIP_vector_typeIjLj3EEmmmmmmmmm.kd
    .uniform_work_group_size: 1
    .uses_dynamic_stack: false
    .vgpr_count:     19
    .vgpr_spill_count: 0
    .wavefront_size: 64
  - .agpr_count:     0
    .args:
      - .address_space:  global
        .offset:         0
        .size:           8
        .value_kind:     global_buffer
      - .address_space:  global
        .offset:         8
        .size:           8
        .value_kind:     global_buffer
      - .address_space:  global
        .offset:         16
        .size:           8
        .value_kind:     global_buffer
      - .offset:         24
        .size:           8
        .value_kind:     by_value
      - .offset:         32
        .size:           8
        .value_kind:     by_value
      - .offset:         40
        .size:           12
        .value_kind:     by_value
      - .offset:         56
        .size:           8
        .value_kind:     by_value
      - .offset:         64
        .size:           8
        .value_kind:     by_value
      - .offset:         72
        .size:           8
        .value_kind:     by_value
      - .offset:         80
        .size:           8
        .value_kind:     by_value
      - .offset:         88
        .size:           8
        .value_kind:     by_value
      - .offset:         96
        .size:           8
        .value_kind:     by_value
      - .offset:         104
        .size:           8
        .value_kind:     by_value
      - .offset:         112
        .size:           8
        .value_kind:     by_value
      - .offset:         120
        .size:           8
        .value_kind:     by_value
      - .offset:         128
        .size:           4
        .value_kind:     hidden_block_count_x
      - .offset:         132
        .size:           4
        .value_kind:     hidden_block_count_y
      - .offset:         136
        .size:           4
        .value_kind:     hidden_block_count_z
      - .offset:         140
        .size:           2
        .value_kind:     hidden_group_size_x
      - .offset:         142
        .size:           2
        .value_kind:     hidden_group_size_y
      - .offset:         144
        .size:           2
        .value_kind:     hidden_group_size_z
      - .offset:         146
        .size:           2
        .value_kind:     hidden_remainder_x
      - .offset:         148
        .size:           2
        .value_kind:     hidden_remainder_y
      - .offset:         150
        .size:           2
        .value_kind:     hidden_remainder_z
      - .offset:         168
        .size:           8
        .value_kind:     hidden_global_offset_x
      - .offset:         176
        .size:           8
        .value_kind:     hidden_global_offset_y
      - .offset:         184
        .size:           8
        .value_kind:     hidden_global_offset_z
      - .offset:         192
        .size:           2
        .value_kind:     hidden_grid_dims
    .group_segment_fixed_size: 0
    .kernarg_segment_align: 8
    .kernarg_segment_size: 384
    .language:       OpenCL C
    .language_version:
      - 2
      - 0
    .max_flat_workgroup_size: 1024
    .name:           _ZL16k_get_rows_floatIifEvPKT_PKiPT0_ll15HIP_vector_typeIjLj3EEmmmmmmmmm
    .private_segment_fixed_size: 0
    .sgpr_count:     100
    .sgpr_spill_count: 0
    .symbol:         _ZL16k_get_rows_floatIifEvPKT_PKiPT0_ll15HIP_vector_typeIjLj3EEmmmmmmmmm.kd
    .uniform_work_group_size: 1
    .uses_dynamic_stack: false
    .vgpr_count:     24
    .vgpr_spill_count: 0
    .wavefront_size: 64
  - .agpr_count:     0
    .args:
      - .address_space:  global
        .offset:         0
        .size:           8
        .value_kind:     global_buffer
      - .address_space:  global
        .offset:         8
        .size:           8
        .value_kind:     global_buffer
      - .address_space:  global
        .offset:         16
        .size:           8
        .value_kind:     global_buffer
      - .offset:         24
        .size:           8
        .value_kind:     by_value
      - .offset:         32
        .size:           8
        .value_kind:     by_value
      - .offset:         40
        .size:           12
        .value_kind:     by_value
      - .offset:         56
        .size:           8
        .value_kind:     by_value
      - .offset:         64
        .size:           8
        .value_kind:     by_value
      - .offset:         72
        .size:           8
        .value_kind:     by_value
      - .offset:         80
        .size:           8
        .value_kind:     by_value
      - .offset:         88
        .size:           8
        .value_kind:     by_value
      - .offset:         96
        .size:           8
        .value_kind:     by_value
      - .offset:         104
        .size:           8
        .value_kind:     by_value
      - .offset:         112
        .size:           8
        .value_kind:     by_value
      - .offset:         120
        .size:           8
        .value_kind:     by_value
      - .offset:         128
        .size:           4
        .value_kind:     hidden_block_count_x
      - .offset:         132
        .size:           4
        .value_kind:     hidden_block_count_y
      - .offset:         136
        .size:           4
        .value_kind:     hidden_block_count_z
      - .offset:         140
        .size:           2
        .value_kind:     hidden_group_size_x
      - .offset:         142
        .size:           2
        .value_kind:     hidden_group_size_y
      - .offset:         144
        .size:           2
        .value_kind:     hidden_group_size_z
      - .offset:         146
        .size:           2
        .value_kind:     hidden_remainder_x
      - .offset:         148
        .size:           2
        .value_kind:     hidden_remainder_y
      - .offset:         150
        .size:           2
        .value_kind:     hidden_remainder_z
      - .offset:         168
        .size:           8
        .value_kind:     hidden_global_offset_x
      - .offset:         176
        .size:           8
        .value_kind:     hidden_global_offset_y
      - .offset:         184
        .size:           8
        .value_kind:     hidden_global_offset_z
      - .offset:         192
        .size:           2
        .value_kind:     hidden_grid_dims
    .group_segment_fixed_size: 0
    .kernarg_segment_align: 8
    .kernarg_segment_size: 384
    .language:       OpenCL C
    .language_version:
      - 2
      - 0
    .max_flat_workgroup_size: 1024
    .name:           _ZL16k_get_rows_floatI14__hip_bfloat16fEvPKT_PKiPT0_ll15HIP_vector_typeIjLj3EEmmmmmmmmm
    .private_segment_fixed_size: 0
    .sgpr_count:     98
    .sgpr_spill_count: 0
    .symbol:         _ZL16k_get_rows_floatI14__hip_bfloat16fEvPKT_PKiPT0_ll15HIP_vector_typeIjLj3EEmmmmmmmmm.kd
    .uniform_work_group_size: 1
    .uses_dynamic_stack: false
    .vgpr_count:     44
    .vgpr_spill_count: 0
    .wavefront_size: 64
  - .agpr_count:     0
    .args:
      - .actual_access:  read_only
        .address_space:  global
        .offset:         0
        .size:           8
        .value_kind:     global_buffer
      - .actual_access:  read_only
        .address_space:  global
        .offset:         8
        .size:           8
        .value_kind:     global_buffer
      - .actual_access:  write_only
        .address_space:  global
        .offset:         16
        .size:           8
        .value_kind:     global_buffer
      - .offset:         24
        .size:           8
        .value_kind:     by_value
      - .offset:         32
        .size:           8
        .value_kind:     by_value
      - .offset:         40
        .size:           12
        .value_kind:     by_value
      - .offset:         56
        .size:           8
        .value_kind:     by_value
      - .offset:         64
        .size:           8
        .value_kind:     by_value
      - .offset:         72
        .size:           8
        .value_kind:     by_value
      - .offset:         80
        .size:           8
        .value_kind:     by_value
      - .offset:         88
        .size:           8
        .value_kind:     by_value
      - .offset:         96
        .size:           8
        .value_kind:     by_value
      - .offset:         104
        .size:           8
        .value_kind:     by_value
      - .offset:         112
        .size:           8
        .value_kind:     by_value
      - .offset:         120
        .size:           8
        .value_kind:     by_value
      - .offset:         128
        .size:           4
        .value_kind:     hidden_block_count_x
      - .offset:         132
        .size:           4
        .value_kind:     hidden_block_count_y
      - .offset:         136
        .size:           4
        .value_kind:     hidden_block_count_z
      - .offset:         140
        .size:           2
        .value_kind:     hidden_group_size_x
      - .offset:         142
        .size:           2
        .value_kind:     hidden_group_size_y
      - .offset:         144
        .size:           2
        .value_kind:     hidden_group_size_z
      - .offset:         146
        .size:           2
        .value_kind:     hidden_remainder_x
      - .offset:         148
        .size:           2
        .value_kind:     hidden_remainder_y
      - .offset:         150
        .size:           2
        .value_kind:     hidden_remainder_z
      - .offset:         168
        .size:           8
        .value_kind:     hidden_global_offset_x
      - .offset:         176
        .size:           8
        .value_kind:     hidden_global_offset_y
      - .offset:         184
        .size:           8
        .value_kind:     hidden_global_offset_z
      - .offset:         192
        .size:           2
        .value_kind:     hidden_grid_dims
    .group_segment_fixed_size: 0
    .kernarg_segment_align: 8
    .kernarg_segment_size: 384
    .language:       OpenCL C
    .language_version:
      - 2
      - 0
    .max_flat_workgroup_size: 1024
    .name:           _ZL10k_get_rowsILi128ELi1EXadL_ZL15dequantize_q1_0PKvliR15HIP_vector_typeIfLj2EEEEfEvS1_PKiPT2_llS2_IjLj3EEmmmmmmmmm
    .private_segment_fixed_size: 0
    .sgpr_count:     52
    .sgpr_spill_count: 0
    .symbol:         _ZL10k_get_rowsILi128ELi1EXadL_ZL15dequantize_q1_0PKvliR15HIP_vector_typeIfLj2EEEEfEvS1_PKiPT2_llS2_IjLj3EEmmmmmmmmm.kd
    .uniform_work_group_size: 1
    .uses_dynamic_stack: false
    .vgpr_count:     25
    .vgpr_spill_count: 0
    .wavefront_size: 64
  - .agpr_count:     0
    .args:
      - .actual_access:  read_only
        .address_space:  global
        .offset:         0
        .size:           8
        .value_kind:     global_buffer
      - .actual_access:  read_only
        .address_space:  global
        .offset:         8
        .size:           8
        .value_kind:     global_buffer
      - .actual_access:  write_only
        .address_space:  global
        .offset:         16
        .size:           8
        .value_kind:     global_buffer
      - .offset:         24
        .size:           8
        .value_kind:     by_value
      - .offset:         32
        .size:           8
        .value_kind:     by_value
      - .offset:         40
        .size:           12
        .value_kind:     by_value
      - .offset:         56
        .size:           8
        .value_kind:     by_value
      - .offset:         64
        .size:           8
        .value_kind:     by_value
      - .offset:         72
        .size:           8
        .value_kind:     by_value
      - .offset:         80
        .size:           8
        .value_kind:     by_value
      - .offset:         88
        .size:           8
        .value_kind:     by_value
      - .offset:         96
        .size:           8
        .value_kind:     by_value
      - .offset:         104
        .size:           8
        .value_kind:     by_value
      - .offset:         112
        .size:           8
        .value_kind:     by_value
      - .offset:         120
        .size:           8
        .value_kind:     by_value
      - .offset:         128
        .size:           4
        .value_kind:     hidden_block_count_x
      - .offset:         132
        .size:           4
        .value_kind:     hidden_block_count_y
      - .offset:         136
        .size:           4
        .value_kind:     hidden_block_count_z
      - .offset:         140
        .size:           2
        .value_kind:     hidden_group_size_x
      - .offset:         142
        .size:           2
        .value_kind:     hidden_group_size_y
      - .offset:         144
        .size:           2
        .value_kind:     hidden_group_size_z
      - .offset:         146
        .size:           2
        .value_kind:     hidden_remainder_x
      - .offset:         148
        .size:           2
        .value_kind:     hidden_remainder_y
      - .offset:         150
        .size:           2
        .value_kind:     hidden_remainder_z
      - .offset:         168
        .size:           8
        .value_kind:     hidden_global_offset_x
      - .offset:         176
        .size:           8
        .value_kind:     hidden_global_offset_y
      - .offset:         184
        .size:           8
        .value_kind:     hidden_global_offset_z
      - .offset:         192
        .size:           2
        .value_kind:     hidden_grid_dims
    .group_segment_fixed_size: 0
    .kernarg_segment_align: 8
    .kernarg_segment_size: 384
    .language:       OpenCL C
    .language_version:
      - 2
      - 0
    .max_flat_workgroup_size: 1024
    .name:           _ZL10k_get_rowsILi32ELi2EXadL_ZL15dequantize_q4_0PKvliR15HIP_vector_typeIfLj2EEEEfEvS1_PKiPT2_llS2_IjLj3EEmmmmmmmmm
    .private_segment_fixed_size: 0
    .sgpr_count:     52
    .sgpr_spill_count: 0
    .symbol:         _ZL10k_get_rowsILi32ELi2EXadL_ZL15dequantize_q4_0PKvliR15HIP_vector_typeIfLj2EEEEfEvS1_PKiPT2_llS2_IjLj3EEmmmmmmmmm.kd
    .uniform_work_group_size: 1
    .uses_dynamic_stack: false
    .vgpr_count:     20
    .vgpr_spill_count: 0
    .wavefront_size: 64
  - .agpr_count:     0
    .args:
      - .actual_access:  read_only
        .address_space:  global
        .offset:         0
        .size:           8
        .value_kind:     global_buffer
      - .actual_access:  read_only
        .address_space:  global
        .offset:         8
        .size:           8
        .value_kind:     global_buffer
      - .actual_access:  write_only
        .address_space:  global
        .offset:         16
        .size:           8
        .value_kind:     global_buffer
      - .offset:         24
        .size:           8
        .value_kind:     by_value
      - .offset:         32
        .size:           8
        .value_kind:     by_value
      - .offset:         40
        .size:           12
        .value_kind:     by_value
      - .offset:         56
        .size:           8
        .value_kind:     by_value
      - .offset:         64
        .size:           8
        .value_kind:     by_value
      - .offset:         72
        .size:           8
        .value_kind:     by_value
      - .offset:         80
        .size:           8
        .value_kind:     by_value
      - .offset:         88
        .size:           8
        .value_kind:     by_value
      - .offset:         96
        .size:           8
        .value_kind:     by_value
      - .offset:         104
        .size:           8
        .value_kind:     by_value
      - .offset:         112
        .size:           8
        .value_kind:     by_value
      - .offset:         120
        .size:           8
        .value_kind:     by_value
      - .offset:         128
        .size:           4
        .value_kind:     hidden_block_count_x
      - .offset:         132
        .size:           4
        .value_kind:     hidden_block_count_y
      - .offset:         136
        .size:           4
        .value_kind:     hidden_block_count_z
      - .offset:         140
        .size:           2
        .value_kind:     hidden_group_size_x
      - .offset:         142
        .size:           2
        .value_kind:     hidden_group_size_y
      - .offset:         144
        .size:           2
        .value_kind:     hidden_group_size_z
      - .offset:         146
        .size:           2
        .value_kind:     hidden_remainder_x
      - .offset:         148
        .size:           2
        .value_kind:     hidden_remainder_y
      - .offset:         150
        .size:           2
        .value_kind:     hidden_remainder_z
      - .offset:         168
        .size:           8
        .value_kind:     hidden_global_offset_x
      - .offset:         176
        .size:           8
        .value_kind:     hidden_global_offset_y
      - .offset:         184
        .size:           8
        .value_kind:     hidden_global_offset_z
      - .offset:         192
        .size:           2
        .value_kind:     hidden_grid_dims
    .group_segment_fixed_size: 0
    .kernarg_segment_align: 8
    .kernarg_segment_size: 384
    .language:       OpenCL C
    .language_version:
      - 2
      - 0
    .max_flat_workgroup_size: 1024
    .name:           _ZL10k_get_rowsILi32ELi2EXadL_ZL15dequantize_q4_1PKvliR15HIP_vector_typeIfLj2EEEEfEvS1_PKiPT2_llS2_IjLj3EEmmmmmmmmm
    .private_segment_fixed_size: 0
    .sgpr_count:     52
    .sgpr_spill_count: 0
    .symbol:         _ZL10k_get_rowsILi32ELi2EXadL_ZL15dequantize_q4_1PKvliR15HIP_vector_typeIfLj2EEEEfEvS1_PKiPT2_llS2_IjLj3EEmmmmmmmmm.kd
    .uniform_work_group_size: 1
    .uses_dynamic_stack: false
    .vgpr_count:     20
    .vgpr_spill_count: 0
    .wavefront_size: 64
  - .agpr_count:     0
    .args:
      - .actual_access:  read_only
        .address_space:  global
        .offset:         0
        .size:           8
        .value_kind:     global_buffer
      - .actual_access:  read_only
        .address_space:  global
        .offset:         8
        .size:           8
        .value_kind:     global_buffer
      - .actual_access:  write_only
        .address_space:  global
        .offset:         16
        .size:           8
        .value_kind:     global_buffer
      - .offset:         24
        .size:           8
        .value_kind:     by_value
      - .offset:         32
        .size:           8
        .value_kind:     by_value
      - .offset:         40
        .size:           12
        .value_kind:     by_value
      - .offset:         56
        .size:           8
        .value_kind:     by_value
      - .offset:         64
        .size:           8
        .value_kind:     by_value
      - .offset:         72
        .size:           8
        .value_kind:     by_value
      - .offset:         80
        .size:           8
        .value_kind:     by_value
      - .offset:         88
        .size:           8
        .value_kind:     by_value
      - .offset:         96
        .size:           8
        .value_kind:     by_value
      - .offset:         104
        .size:           8
        .value_kind:     by_value
      - .offset:         112
        .size:           8
        .value_kind:     by_value
      - .offset:         120
        .size:           8
        .value_kind:     by_value
      - .offset:         128
        .size:           4
        .value_kind:     hidden_block_count_x
      - .offset:         132
        .size:           4
        .value_kind:     hidden_block_count_y
      - .offset:         136
        .size:           4
        .value_kind:     hidden_block_count_z
      - .offset:         140
        .size:           2
        .value_kind:     hidden_group_size_x
      - .offset:         142
        .size:           2
        .value_kind:     hidden_group_size_y
      - .offset:         144
        .size:           2
        .value_kind:     hidden_group_size_z
      - .offset:         146
        .size:           2
        .value_kind:     hidden_remainder_x
      - .offset:         148
        .size:           2
        .value_kind:     hidden_remainder_y
      - .offset:         150
        .size:           2
        .value_kind:     hidden_remainder_z
      - .offset:         168
        .size:           8
        .value_kind:     hidden_global_offset_x
      - .offset:         176
        .size:           8
        .value_kind:     hidden_global_offset_y
      - .offset:         184
        .size:           8
        .value_kind:     hidden_global_offset_z
      - .offset:         192
        .size:           2
        .value_kind:     hidden_grid_dims
    .group_segment_fixed_size: 0
    .kernarg_segment_align: 8
    .kernarg_segment_size: 384
    .language:       OpenCL C
    .language_version:
      - 2
      - 0
    .max_flat_workgroup_size: 1024
    .name:           _ZL10k_get_rowsILi32ELi2EXadL_ZL15dequantize_q5_0PKvliR15HIP_vector_typeIfLj2EEEEfEvS1_PKiPT2_llS2_IjLj3EEmmmmmmmmm
    .private_segment_fixed_size: 0
    .sgpr_count:     54
    .sgpr_spill_count: 0
    .symbol:         _ZL10k_get_rowsILi32ELi2EXadL_ZL15dequantize_q5_0PKvliR15HIP_vector_typeIfLj2EEEEfEvS1_PKiPT2_llS2_IjLj3EEmmmmmmmmm.kd
    .uniform_work_group_size: 1
    .uses_dynamic_stack: false
    .vgpr_count:     21
    .vgpr_spill_count: 0
    .wavefront_size: 64
  - .agpr_count:     0
    .args:
      - .actual_access:  read_only
        .address_space:  global
        .offset:         0
        .size:           8
        .value_kind:     global_buffer
      - .actual_access:  read_only
        .address_space:  global
        .offset:         8
        .size:           8
        .value_kind:     global_buffer
      - .actual_access:  write_only
        .address_space:  global
        .offset:         16
        .size:           8
        .value_kind:     global_buffer
      - .offset:         24
        .size:           8
        .value_kind:     by_value
      - .offset:         32
        .size:           8
        .value_kind:     by_value
      - .offset:         40
        .size:           12
        .value_kind:     by_value
      - .offset:         56
        .size:           8
        .value_kind:     by_value
      - .offset:         64
        .size:           8
        .value_kind:     by_value
      - .offset:         72
        .size:           8
        .value_kind:     by_value
      - .offset:         80
        .size:           8
        .value_kind:     by_value
      - .offset:         88
        .size:           8
        .value_kind:     by_value
      - .offset:         96
        .size:           8
        .value_kind:     by_value
      - .offset:         104
        .size:           8
        .value_kind:     by_value
      - .offset:         112
        .size:           8
        .value_kind:     by_value
      - .offset:         120
        .size:           8
        .value_kind:     by_value
      - .offset:         128
        .size:           4
        .value_kind:     hidden_block_count_x
      - .offset:         132
        .size:           4
        .value_kind:     hidden_block_count_y
      - .offset:         136
        .size:           4
        .value_kind:     hidden_block_count_z
      - .offset:         140
        .size:           2
        .value_kind:     hidden_group_size_x
      - .offset:         142
        .size:           2
        .value_kind:     hidden_group_size_y
      - .offset:         144
        .size:           2
        .value_kind:     hidden_group_size_z
      - .offset:         146
        .size:           2
        .value_kind:     hidden_remainder_x
      - .offset:         148
        .size:           2
        .value_kind:     hidden_remainder_y
      - .offset:         150
        .size:           2
        .value_kind:     hidden_remainder_z
      - .offset:         168
        .size:           8
        .value_kind:     hidden_global_offset_x
      - .offset:         176
        .size:           8
        .value_kind:     hidden_global_offset_y
      - .offset:         184
        .size:           8
        .value_kind:     hidden_global_offset_z
      - .offset:         192
        .size:           2
        .value_kind:     hidden_grid_dims
    .group_segment_fixed_size: 0
    .kernarg_segment_align: 8
    .kernarg_segment_size: 384
    .language:       OpenCL C
    .language_version:
      - 2
      - 0
    .max_flat_workgroup_size: 1024
    .name:           _ZL10k_get_rowsILi32ELi2EXadL_ZL15dequantize_q5_1PKvliR15HIP_vector_typeIfLj2EEEEfEvS1_PKiPT2_llS2_IjLj3EEmmmmmmmmm
    .private_segment_fixed_size: 0
    .sgpr_count:     52
    .sgpr_spill_count: 0
    .symbol:         _ZL10k_get_rowsILi32ELi2EXadL_ZL15dequantize_q5_1PKvliR15HIP_vector_typeIfLj2EEEEfEvS1_PKiPT2_llS2_IjLj3EEmmmmmmmmm.kd
    .uniform_work_group_size: 1
    .uses_dynamic_stack: false
    .vgpr_count:     23
    .vgpr_spill_count: 0
    .wavefront_size: 64
  - .agpr_count:     0
    .args:
      - .actual_access:  read_only
        .address_space:  global
        .offset:         0
        .size:           8
        .value_kind:     global_buffer
      - .actual_access:  read_only
        .address_space:  global
        .offset:         8
        .size:           8
        .value_kind:     global_buffer
      - .actual_access:  write_only
        .address_space:  global
        .offset:         16
        .size:           8
        .value_kind:     global_buffer
      - .offset:         24
        .size:           8
        .value_kind:     by_value
      - .offset:         32
        .size:           8
        .value_kind:     by_value
      - .offset:         40
        .size:           12
        .value_kind:     by_value
      - .offset:         56
        .size:           8
        .value_kind:     by_value
      - .offset:         64
        .size:           8
        .value_kind:     by_value
      - .offset:         72
        .size:           8
        .value_kind:     by_value
      - .offset:         80
        .size:           8
        .value_kind:     by_value
      - .offset:         88
        .size:           8
        .value_kind:     by_value
      - .offset:         96
        .size:           8
        .value_kind:     by_value
      - .offset:         104
        .size:           8
        .value_kind:     by_value
      - .offset:         112
        .size:           8
        .value_kind:     by_value
      - .offset:         120
        .size:           8
        .value_kind:     by_value
      - .offset:         128
        .size:           4
        .value_kind:     hidden_block_count_x
      - .offset:         132
        .size:           4
        .value_kind:     hidden_block_count_y
      - .offset:         136
        .size:           4
        .value_kind:     hidden_block_count_z
      - .offset:         140
        .size:           2
        .value_kind:     hidden_group_size_x
      - .offset:         142
        .size:           2
        .value_kind:     hidden_group_size_y
      - .offset:         144
        .size:           2
        .value_kind:     hidden_group_size_z
      - .offset:         146
        .size:           2
        .value_kind:     hidden_remainder_x
      - .offset:         148
        .size:           2
        .value_kind:     hidden_remainder_y
      - .offset:         150
        .size:           2
        .value_kind:     hidden_remainder_z
      - .offset:         168
        .size:           8
        .value_kind:     hidden_global_offset_x
      - .offset:         176
        .size:           8
        .value_kind:     hidden_global_offset_y
      - .offset:         184
        .size:           8
        .value_kind:     hidden_global_offset_z
      - .offset:         192
        .size:           2
        .value_kind:     hidden_grid_dims
    .group_segment_fixed_size: 0
    .kernarg_segment_align: 8
    .kernarg_segment_size: 384
    .language:       OpenCL C
    .language_version:
      - 2
      - 0
    .max_flat_workgroup_size: 1024
    .name:           _ZL10k_get_rowsILi32ELi1EXadL_ZL15dequantize_q8_0PKvliR15HIP_vector_typeIfLj2EEEEfEvS1_PKiPT2_llS2_IjLj3EEmmmmmmmmm
    .private_segment_fixed_size: 0
    .sgpr_count:     52
    .sgpr_spill_count: 0
    .symbol:         _ZL10k_get_rowsILi32ELi1EXadL_ZL15dequantize_q8_0PKvliR15HIP_vector_typeIfLj2EEEEfEvS1_PKiPT2_llS2_IjLj3EEmmmmmmmmm.kd
    .uniform_work_group_size: 1
    .uses_dynamic_stack: false
    .vgpr_count:     24
    .vgpr_spill_count: 0
    .wavefront_size: 64
  - .agpr_count:     0
    .args:
      - .address_space:  global
        .offset:         0
        .size:           8
        .value_kind:     global_buffer
      - .address_space:  global
        .offset:         8
        .size:           8
        .value_kind:     global_buffer
      - .address_space:  global
        .offset:         16
        .size:           8
        .value_kind:     global_buffer
      - .offset:         24
        .size:           8
        .value_kind:     by_value
      - .offset:         32
        .size:           8
        .value_kind:     by_value
      - .offset:         40
        .size:           12
        .value_kind:     by_value
      - .offset:         56
        .size:           8
        .value_kind:     by_value
      - .offset:         64
        .size:           8
        .value_kind:     by_value
      - .offset:         72
        .size:           8
        .value_kind:     by_value
      - .offset:         80
        .size:           8
        .value_kind:     by_value
      - .offset:         88
        .size:           8
        .value_kind:     by_value
      - .offset:         96
        .size:           8
        .value_kind:     by_value
      - .offset:         104
        .size:           8
        .value_kind:     by_value
      - .offset:         112
        .size:           8
        .value_kind:     by_value
      - .offset:         120
        .size:           8
        .value_kind:     by_value
      - .offset:         128
        .size:           4
        .value_kind:     hidden_block_count_x
      - .offset:         132
        .size:           4
        .value_kind:     hidden_block_count_y
      - .offset:         136
        .size:           4
        .value_kind:     hidden_block_count_z
      - .offset:         140
        .size:           2
        .value_kind:     hidden_group_size_x
      - .offset:         142
        .size:           2
        .value_kind:     hidden_group_size_y
      - .offset:         144
        .size:           2
        .value_kind:     hidden_group_size_z
      - .offset:         146
        .size:           2
        .value_kind:     hidden_remainder_x
      - .offset:         148
        .size:           2
        .value_kind:     hidden_remainder_y
      - .offset:         150
        .size:           2
        .value_kind:     hidden_remainder_z
      - .offset:         168
        .size:           8
        .value_kind:     hidden_global_offset_x
      - .offset:         176
        .size:           8
        .value_kind:     hidden_global_offset_y
      - .offset:         184
        .size:           8
        .value_kind:     hidden_global_offset_z
      - .offset:         192
        .size:           2
        .value_kind:     hidden_grid_dims
    .group_segment_fixed_size: 0
    .kernarg_segment_align: 8
    .kernarg_segment_size: 384
    .language:       OpenCL C
    .language_version:
      - 2
      - 0
    .max_flat_workgroup_size: 1024
    .name:           _ZL16k_get_rows_floatI6__halfiEvPKT_PKiPT0_ll15HIP_vector_typeIjLj3EEmmmmmmmmm
    .private_segment_fixed_size: 0
    .sgpr_count:     48
    .sgpr_spill_count: 0
    .symbol:         _ZL16k_get_rows_floatI6__halfiEvPKT_PKiPT0_ll15HIP_vector_typeIjLj3EEmmmmmmmmm.kd
    .uniform_work_group_size: 1
    .uses_dynamic_stack: false
    .vgpr_count:     22
    .vgpr_spill_count: 0
    .wavefront_size: 64
  - .agpr_count:     0
    .args:
      - .address_space:  global
        .offset:         0
        .size:           8
        .value_kind:     global_buffer
      - .address_space:  global
        .offset:         8
        .size:           8
        .value_kind:     global_buffer
      - .address_space:  global
        .offset:         16
        .size:           8
        .value_kind:     global_buffer
      - .offset:         24
        .size:           8
        .value_kind:     by_value
      - .offset:         32
        .size:           8
        .value_kind:     by_value
      - .offset:         40
        .size:           12
        .value_kind:     by_value
      - .offset:         56
        .size:           8
        .value_kind:     by_value
      - .offset:         64
        .size:           8
        .value_kind:     by_value
      - .offset:         72
        .size:           8
        .value_kind:     by_value
      - .offset:         80
        .size:           8
        .value_kind:     by_value
      - .offset:         88
        .size:           8
        .value_kind:     by_value
      - .offset:         96
        .size:           8
        .value_kind:     by_value
      - .offset:         104
        .size:           8
        .value_kind:     by_value
      - .offset:         112
        .size:           8
        .value_kind:     by_value
      - .offset:         120
        .size:           8
        .value_kind:     by_value
      - .offset:         128
        .size:           4
        .value_kind:     hidden_block_count_x
      - .offset:         132
        .size:           4
        .value_kind:     hidden_block_count_y
      - .offset:         136
        .size:           4
        .value_kind:     hidden_block_count_z
      - .offset:         140
        .size:           2
        .value_kind:     hidden_group_size_x
      - .offset:         142
        .size:           2
        .value_kind:     hidden_group_size_y
      - .offset:         144
        .size:           2
        .value_kind:     hidden_group_size_z
      - .offset:         146
        .size:           2
        .value_kind:     hidden_remainder_x
      - .offset:         148
        .size:           2
        .value_kind:     hidden_remainder_y
      - .offset:         150
        .size:           2
        .value_kind:     hidden_remainder_z
      - .offset:         168
        .size:           8
        .value_kind:     hidden_global_offset_x
      - .offset:         176
        .size:           8
        .value_kind:     hidden_global_offset_y
      - .offset:         184
        .size:           8
        .value_kind:     hidden_global_offset_z
      - .offset:         192
        .size:           2
        .value_kind:     hidden_grid_dims
    .group_segment_fixed_size: 0
    .kernarg_segment_align: 8
    .kernarg_segment_size: 384
    .language:       OpenCL C
    .language_version:
      - 2
      - 0
    .max_flat_workgroup_size: 1024
    .name:           _ZL16k_get_rows_floatIfiEvPKT_PKiPT0_ll15HIP_vector_typeIjLj3EEmmmmmmmmm
    .private_segment_fixed_size: 0
    .sgpr_count:     48
    .sgpr_spill_count: 0
    .symbol:         _ZL16k_get_rows_floatIfiEvPKT_PKiPT0_ll15HIP_vector_typeIjLj3EEmmmmmmmmm.kd
    .uniform_work_group_size: 1
    .uses_dynamic_stack: false
    .vgpr_count:     20
    .vgpr_spill_count: 0
    .wavefront_size: 64
  - .agpr_count:     0
    .args:
      - .address_space:  global
        .offset:         0
        .size:           8
        .value_kind:     global_buffer
      - .address_space:  global
        .offset:         8
        .size:           8
        .value_kind:     global_buffer
      - .address_space:  global
        .offset:         16
        .size:           8
        .value_kind:     global_buffer
      - .offset:         24
        .size:           8
        .value_kind:     by_value
      - .offset:         32
        .size:           8
        .value_kind:     by_value
      - .offset:         40
        .size:           12
        .value_kind:     by_value
      - .offset:         56
        .size:           8
        .value_kind:     by_value
      - .offset:         64
        .size:           8
        .value_kind:     by_value
      - .offset:         72
        .size:           8
        .value_kind:     by_value
      - .offset:         80
        .size:           8
        .value_kind:     by_value
      - .offset:         88
        .size:           8
        .value_kind:     by_value
      - .offset:         96
        .size:           8
        .value_kind:     by_value
      - .offset:         104
        .size:           8
        .value_kind:     by_value
      - .offset:         112
        .size:           8
        .value_kind:     by_value
      - .offset:         120
        .size:           8
        .value_kind:     by_value
      - .offset:         128
        .size:           4
        .value_kind:     hidden_block_count_x
      - .offset:         132
        .size:           4
        .value_kind:     hidden_block_count_y
      - .offset:         136
        .size:           4
        .value_kind:     hidden_block_count_z
      - .offset:         140
        .size:           2
        .value_kind:     hidden_group_size_x
      - .offset:         142
        .size:           2
        .value_kind:     hidden_group_size_y
      - .offset:         144
        .size:           2
        .value_kind:     hidden_group_size_z
      - .offset:         146
        .size:           2
        .value_kind:     hidden_remainder_x
      - .offset:         148
        .size:           2
        .value_kind:     hidden_remainder_y
      - .offset:         150
        .size:           2
        .value_kind:     hidden_remainder_z
      - .offset:         168
        .size:           8
        .value_kind:     hidden_global_offset_x
      - .offset:         176
        .size:           8
        .value_kind:     hidden_global_offset_y
      - .offset:         184
        .size:           8
        .value_kind:     hidden_global_offset_z
      - .offset:         192
        .size:           2
        .value_kind:     hidden_grid_dims
    .group_segment_fixed_size: 0
    .kernarg_segment_align: 8
    .kernarg_segment_size: 384
    .language:       OpenCL C
    .language_version:
      - 2
      - 0
    .max_flat_workgroup_size: 1024
    .name:           _ZL16k_get_rows_floatIiiEvPKT_PKiPT0_ll15HIP_vector_typeIjLj3EEmmmmmmmmm
    .private_segment_fixed_size: 0
    .sgpr_count:     48
    .sgpr_spill_count: 0
    .symbol:         _ZL16k_get_rows_floatIiiEvPKT_PKiPT0_ll15HIP_vector_typeIjLj3EEmmmmmmmmm.kd
    .uniform_work_group_size: 1
    .uses_dynamic_stack: false
    .vgpr_count:     20
    .vgpr_spill_count: 0
    .wavefront_size: 64
  - .agpr_count:     0
    .args:
      - .address_space:  global
        .offset:         0
        .size:           8
        .value_kind:     global_buffer
      - .address_space:  global
        .offset:         8
        .size:           8
        .value_kind:     global_buffer
      - .address_space:  global
        .offset:         16
        .size:           8
        .value_kind:     global_buffer
      - .offset:         24
        .size:           8
        .value_kind:     by_value
      - .offset:         32
        .size:           8
        .value_kind:     by_value
      - .offset:         40
        .size:           12
        .value_kind:     by_value
      - .offset:         56
        .size:           8
        .value_kind:     by_value
      - .offset:         64
        .size:           8
        .value_kind:     by_value
      - .offset:         72
        .size:           8
        .value_kind:     by_value
      - .offset:         80
        .size:           8
        .value_kind:     by_value
      - .offset:         88
        .size:           8
        .value_kind:     by_value
      - .offset:         96
        .size:           8
        .value_kind:     by_value
      - .offset:         104
        .size:           8
        .value_kind:     by_value
      - .offset:         112
        .size:           8
        .value_kind:     by_value
      - .offset:         120
        .size:           8
        .value_kind:     by_value
      - .offset:         128
        .size:           4
        .value_kind:     hidden_block_count_x
      - .offset:         132
        .size:           4
        .value_kind:     hidden_block_count_y
      - .offset:         136
        .size:           4
        .value_kind:     hidden_block_count_z
      - .offset:         140
        .size:           2
        .value_kind:     hidden_group_size_x
      - .offset:         142
        .size:           2
        .value_kind:     hidden_group_size_y
      - .offset:         144
        .size:           2
        .value_kind:     hidden_group_size_z
      - .offset:         146
        .size:           2
        .value_kind:     hidden_remainder_x
      - .offset:         148
        .size:           2
        .value_kind:     hidden_remainder_y
      - .offset:         150
        .size:           2
        .value_kind:     hidden_remainder_z
      - .offset:         168
        .size:           8
        .value_kind:     hidden_global_offset_x
      - .offset:         176
        .size:           8
        .value_kind:     hidden_global_offset_y
      - .offset:         184
        .size:           8
        .value_kind:     hidden_global_offset_z
      - .offset:         192
        .size:           2
        .value_kind:     hidden_grid_dims
    .group_segment_fixed_size: 0
    .kernarg_segment_align: 8
    .kernarg_segment_size: 384
    .language:       OpenCL C
    .language_version:
      - 2
      - 0
    .max_flat_workgroup_size: 1024
    .name:           _ZL16k_get_rows_floatI14__hip_bfloat16iEvPKT_PKiPT0_ll15HIP_vector_typeIjLj3EEmmmmmmmmm
    .private_segment_fixed_size: 0
    .sgpr_count:     48
    .sgpr_spill_count: 0
    .symbol:         _ZL16k_get_rows_floatI14__hip_bfloat16iEvPKT_PKiPT0_ll15HIP_vector_typeIjLj3EEmmmmmmmmm.kd
    .uniform_work_group_size: 1
    .uses_dynamic_stack: false
    .vgpr_count:     22
    .vgpr_spill_count: 0
    .wavefront_size: 64
  - .agpr_count:     0
    .args:
      - .actual_access:  read_only
        .address_space:  global
        .offset:         0
        .size:           8
        .value_kind:     global_buffer
      - .actual_access:  read_only
        .address_space:  global
        .offset:         8
        .size:           8
        .value_kind:     global_buffer
      - .actual_access:  write_only
        .address_space:  global
        .offset:         16
        .size:           8
        .value_kind:     global_buffer
      - .offset:         24
        .size:           8
        .value_kind:     by_value
      - .offset:         32
        .size:           8
        .value_kind:     by_value
      - .offset:         40
        .size:           12
        .value_kind:     by_value
      - .offset:         56
        .size:           8
        .value_kind:     by_value
      - .offset:         64
        .size:           8
        .value_kind:     by_value
      - .offset:         72
        .size:           8
        .value_kind:     by_value
      - .offset:         80
        .size:           8
        .value_kind:     by_value
      - .offset:         88
        .size:           8
        .value_kind:     by_value
      - .offset:         96
        .size:           8
        .value_kind:     by_value
      - .offset:         104
        .size:           8
        .value_kind:     by_value
      - .offset:         112
        .size:           8
        .value_kind:     by_value
      - .offset:         120
        .size:           8
        .value_kind:     by_value
      - .offset:         128
        .size:           4
        .value_kind:     hidden_block_count_x
      - .offset:         132
        .size:           4
        .value_kind:     hidden_block_count_y
      - .offset:         136
        .size:           4
        .value_kind:     hidden_block_count_z
      - .offset:         140
        .size:           2
        .value_kind:     hidden_group_size_x
      - .offset:         142
        .size:           2
        .value_kind:     hidden_group_size_y
      - .offset:         144
        .size:           2
        .value_kind:     hidden_group_size_z
      - .offset:         146
        .size:           2
        .value_kind:     hidden_remainder_x
      - .offset:         148
        .size:           2
        .value_kind:     hidden_remainder_y
      - .offset:         150
        .size:           2
        .value_kind:     hidden_remainder_z
      - .offset:         168
        .size:           8
        .value_kind:     hidden_global_offset_x
      - .offset:         176
        .size:           8
        .value_kind:     hidden_global_offset_y
      - .offset:         184
        .size:           8
        .value_kind:     hidden_global_offset_z
      - .offset:         192
        .size:           2
        .value_kind:     hidden_grid_dims
    .group_segment_fixed_size: 0
    .kernarg_segment_align: 8
    .kernarg_segment_size: 384
    .language:       OpenCL C
    .language_version:
      - 2
      - 0
    .max_flat_workgroup_size: 1024
    .name:           _ZL10k_get_rowsILi128ELi1EXadL_ZL15dequantize_q1_0PKvliR15HIP_vector_typeIfLj2EEEEiEvS1_PKiPT2_llS2_IjLj3EEmmmmmmmmm
    .private_segment_fixed_size: 0
    .sgpr_count:     52
    .sgpr_spill_count: 0
    .symbol:         _ZL10k_get_rowsILi128ELi1EXadL_ZL15dequantize_q1_0PKvliR15HIP_vector_typeIfLj2EEEEiEvS1_PKiPT2_llS2_IjLj3EEmmmmmmmmm.kd
    .uniform_work_group_size: 1
    .uses_dynamic_stack: false
    .vgpr_count:     25
    .vgpr_spill_count: 0
    .wavefront_size: 64
  - .agpr_count:     0
    .args:
      - .actual_access:  read_only
        .address_space:  global
        .offset:         0
        .size:           8
        .value_kind:     global_buffer
      - .actual_access:  read_only
        .address_space:  global
        .offset:         8
        .size:           8
        .value_kind:     global_buffer
      - .actual_access:  write_only
        .address_space:  global
        .offset:         16
        .size:           8
        .value_kind:     global_buffer
      - .offset:         24
        .size:           8
        .value_kind:     by_value
      - .offset:         32
        .size:           8
        .value_kind:     by_value
      - .offset:         40
        .size:           12
        .value_kind:     by_value
      - .offset:         56
        .size:           8
        .value_kind:     by_value
      - .offset:         64
        .size:           8
        .value_kind:     by_value
      - .offset:         72
        .size:           8
        .value_kind:     by_value
      - .offset:         80
        .size:           8
        .value_kind:     by_value
      - .offset:         88
        .size:           8
        .value_kind:     by_value
      - .offset:         96
        .size:           8
        .value_kind:     by_value
      - .offset:         104
        .size:           8
        .value_kind:     by_value
      - .offset:         112
        .size:           8
        .value_kind:     by_value
      - .offset:         120
        .size:           8
        .value_kind:     by_value
      - .offset:         128
        .size:           4
        .value_kind:     hidden_block_count_x
      - .offset:         132
        .size:           4
        .value_kind:     hidden_block_count_y
      - .offset:         136
        .size:           4
        .value_kind:     hidden_block_count_z
      - .offset:         140
        .size:           2
        .value_kind:     hidden_group_size_x
      - .offset:         142
        .size:           2
        .value_kind:     hidden_group_size_y
      - .offset:         144
        .size:           2
        .value_kind:     hidden_group_size_z
      - .offset:         146
        .size:           2
        .value_kind:     hidden_remainder_x
      - .offset:         148
        .size:           2
        .value_kind:     hidden_remainder_y
      - .offset:         150
        .size:           2
        .value_kind:     hidden_remainder_z
      - .offset:         168
        .size:           8
        .value_kind:     hidden_global_offset_x
      - .offset:         176
        .size:           8
        .value_kind:     hidden_global_offset_y
      - .offset:         184
        .size:           8
        .value_kind:     hidden_global_offset_z
      - .offset:         192
        .size:           2
        .value_kind:     hidden_grid_dims
    .group_segment_fixed_size: 0
    .kernarg_segment_align: 8
    .kernarg_segment_size: 384
    .language:       OpenCL C
    .language_version:
      - 2
      - 0
    .max_flat_workgroup_size: 1024
    .name:           _ZL10k_get_rowsILi32ELi2EXadL_ZL15dequantize_q4_0PKvliR15HIP_vector_typeIfLj2EEEEiEvS1_PKiPT2_llS2_IjLj3EEmmmmmmmmm
    .private_segment_fixed_size: 0
    .sgpr_count:     52
    .sgpr_spill_count: 0
    .symbol:         _ZL10k_get_rowsILi32ELi2EXadL_ZL15dequantize_q4_0PKvliR15HIP_vector_typeIfLj2EEEEiEvS1_PKiPT2_llS2_IjLj3EEmmmmmmmmm.kd
    .uniform_work_group_size: 1
    .uses_dynamic_stack: false
    .vgpr_count:     20
    .vgpr_spill_count: 0
    .wavefront_size: 64
  - .agpr_count:     0
    .args:
      - .actual_access:  read_only
        .address_space:  global
        .offset:         0
        .size:           8
        .value_kind:     global_buffer
      - .actual_access:  read_only
        .address_space:  global
        .offset:         8
        .size:           8
        .value_kind:     global_buffer
      - .actual_access:  write_only
        .address_space:  global
        .offset:         16
        .size:           8
        .value_kind:     global_buffer
      - .offset:         24
        .size:           8
        .value_kind:     by_value
      - .offset:         32
        .size:           8
        .value_kind:     by_value
      - .offset:         40
        .size:           12
        .value_kind:     by_value
      - .offset:         56
        .size:           8
        .value_kind:     by_value
      - .offset:         64
        .size:           8
        .value_kind:     by_value
      - .offset:         72
        .size:           8
        .value_kind:     by_value
      - .offset:         80
        .size:           8
        .value_kind:     by_value
      - .offset:         88
        .size:           8
        .value_kind:     by_value
      - .offset:         96
        .size:           8
        .value_kind:     by_value
      - .offset:         104
        .size:           8
        .value_kind:     by_value
      - .offset:         112
        .size:           8
        .value_kind:     by_value
      - .offset:         120
        .size:           8
        .value_kind:     by_value
      - .offset:         128
        .size:           4
        .value_kind:     hidden_block_count_x
      - .offset:         132
        .size:           4
        .value_kind:     hidden_block_count_y
      - .offset:         136
        .size:           4
        .value_kind:     hidden_block_count_z
      - .offset:         140
        .size:           2
        .value_kind:     hidden_group_size_x
      - .offset:         142
        .size:           2
        .value_kind:     hidden_group_size_y
      - .offset:         144
        .size:           2
        .value_kind:     hidden_group_size_z
      - .offset:         146
        .size:           2
        .value_kind:     hidden_remainder_x
      - .offset:         148
        .size:           2
        .value_kind:     hidden_remainder_y
      - .offset:         150
        .size:           2
        .value_kind:     hidden_remainder_z
      - .offset:         168
        .size:           8
        .value_kind:     hidden_global_offset_x
      - .offset:         176
        .size:           8
        .value_kind:     hidden_global_offset_y
      - .offset:         184
        .size:           8
        .value_kind:     hidden_global_offset_z
      - .offset:         192
        .size:           2
        .value_kind:     hidden_grid_dims
    .group_segment_fixed_size: 0
    .kernarg_segment_align: 8
    .kernarg_segment_size: 384
    .language:       OpenCL C
    .language_version:
      - 2
      - 0
    .max_flat_workgroup_size: 1024
    .name:           _ZL10k_get_rowsILi32ELi2EXadL_ZL15dequantize_q4_1PKvliR15HIP_vector_typeIfLj2EEEEiEvS1_PKiPT2_llS2_IjLj3EEmmmmmmmmm
    .private_segment_fixed_size: 0
    .sgpr_count:     52
    .sgpr_spill_count: 0
    .symbol:         _ZL10k_get_rowsILi32ELi2EXadL_ZL15dequantize_q4_1PKvliR15HIP_vector_typeIfLj2EEEEiEvS1_PKiPT2_llS2_IjLj3EEmmmmmmmmm.kd
    .uniform_work_group_size: 1
    .uses_dynamic_stack: false
    .vgpr_count:     20
    .vgpr_spill_count: 0
    .wavefront_size: 64
  - .agpr_count:     0
    .args:
      - .actual_access:  read_only
        .address_space:  global
        .offset:         0
        .size:           8
        .value_kind:     global_buffer
      - .actual_access:  read_only
        .address_space:  global
        .offset:         8
        .size:           8
        .value_kind:     global_buffer
      - .actual_access:  write_only
        .address_space:  global
        .offset:         16
        .size:           8
        .value_kind:     global_buffer
      - .offset:         24
        .size:           8
        .value_kind:     by_value
      - .offset:         32
        .size:           8
        .value_kind:     by_value
      - .offset:         40
        .size:           12
        .value_kind:     by_value
      - .offset:         56
        .size:           8
        .value_kind:     by_value
      - .offset:         64
        .size:           8
        .value_kind:     by_value
      - .offset:         72
        .size:           8
        .value_kind:     by_value
      - .offset:         80
        .size:           8
        .value_kind:     by_value
      - .offset:         88
        .size:           8
        .value_kind:     by_value
      - .offset:         96
        .size:           8
        .value_kind:     by_value
      - .offset:         104
        .size:           8
        .value_kind:     by_value
      - .offset:         112
        .size:           8
        .value_kind:     by_value
      - .offset:         120
        .size:           8
        .value_kind:     by_value
      - .offset:         128
        .size:           4
        .value_kind:     hidden_block_count_x
      - .offset:         132
        .size:           4
        .value_kind:     hidden_block_count_y
      - .offset:         136
        .size:           4
        .value_kind:     hidden_block_count_z
      - .offset:         140
        .size:           2
        .value_kind:     hidden_group_size_x
      - .offset:         142
        .size:           2
        .value_kind:     hidden_group_size_y
      - .offset:         144
        .size:           2
        .value_kind:     hidden_group_size_z
      - .offset:         146
        .size:           2
        .value_kind:     hidden_remainder_x
      - .offset:         148
        .size:           2
        .value_kind:     hidden_remainder_y
      - .offset:         150
        .size:           2
        .value_kind:     hidden_remainder_z
      - .offset:         168
        .size:           8
        .value_kind:     hidden_global_offset_x
      - .offset:         176
        .size:           8
        .value_kind:     hidden_global_offset_y
      - .offset:         184
        .size:           8
        .value_kind:     hidden_global_offset_z
      - .offset:         192
        .size:           2
        .value_kind:     hidden_grid_dims
    .group_segment_fixed_size: 0
    .kernarg_segment_align: 8
    .kernarg_segment_size: 384
    .language:       OpenCL C
    .language_version:
      - 2
      - 0
    .max_flat_workgroup_size: 1024
    .name:           _ZL10k_get_rowsILi32ELi2EXadL_ZL15dequantize_q5_0PKvliR15HIP_vector_typeIfLj2EEEEiEvS1_PKiPT2_llS2_IjLj3EEmmmmmmmmm
    .private_segment_fixed_size: 0
    .sgpr_count:     54
    .sgpr_spill_count: 0
    .symbol:         _ZL10k_get_rowsILi32ELi2EXadL_ZL15dequantize_q5_0PKvliR15HIP_vector_typeIfLj2EEEEiEvS1_PKiPT2_llS2_IjLj3EEmmmmmmmmm.kd
    .uniform_work_group_size: 1
    .uses_dynamic_stack: false
    .vgpr_count:     21
    .vgpr_spill_count: 0
    .wavefront_size: 64
  - .agpr_count:     0
    .args:
      - .actual_access:  read_only
        .address_space:  global
        .offset:         0
        .size:           8
        .value_kind:     global_buffer
      - .actual_access:  read_only
        .address_space:  global
        .offset:         8
        .size:           8
        .value_kind:     global_buffer
      - .actual_access:  write_only
        .address_space:  global
        .offset:         16
        .size:           8
        .value_kind:     global_buffer
      - .offset:         24
        .size:           8
        .value_kind:     by_value
      - .offset:         32
        .size:           8
        .value_kind:     by_value
      - .offset:         40
        .size:           12
        .value_kind:     by_value
      - .offset:         56
        .size:           8
        .value_kind:     by_value
      - .offset:         64
        .size:           8
        .value_kind:     by_value
      - .offset:         72
        .size:           8
        .value_kind:     by_value
      - .offset:         80
        .size:           8
        .value_kind:     by_value
      - .offset:         88
        .size:           8
        .value_kind:     by_value
      - .offset:         96
        .size:           8
        .value_kind:     by_value
      - .offset:         104
        .size:           8
        .value_kind:     by_value
      - .offset:         112
        .size:           8
        .value_kind:     by_value
      - .offset:         120
        .size:           8
        .value_kind:     by_value
      - .offset:         128
        .size:           4
        .value_kind:     hidden_block_count_x
      - .offset:         132
        .size:           4
        .value_kind:     hidden_block_count_y
      - .offset:         136
        .size:           4
        .value_kind:     hidden_block_count_z
      - .offset:         140
        .size:           2
        .value_kind:     hidden_group_size_x
      - .offset:         142
        .size:           2
        .value_kind:     hidden_group_size_y
      - .offset:         144
        .size:           2
        .value_kind:     hidden_group_size_z
      - .offset:         146
        .size:           2
        .value_kind:     hidden_remainder_x
      - .offset:         148
        .size:           2
        .value_kind:     hidden_remainder_y
      - .offset:         150
        .size:           2
        .value_kind:     hidden_remainder_z
      - .offset:         168
        .size:           8
        .value_kind:     hidden_global_offset_x
      - .offset:         176
        .size:           8
        .value_kind:     hidden_global_offset_y
      - .offset:         184
        .size:           8
        .value_kind:     hidden_global_offset_z
      - .offset:         192
        .size:           2
        .value_kind:     hidden_grid_dims
    .group_segment_fixed_size: 0
    .kernarg_segment_align: 8
    .kernarg_segment_size: 384
    .language:       OpenCL C
    .language_version:
      - 2
      - 0
    .max_flat_workgroup_size: 1024
    .name:           _ZL10k_get_rowsILi32ELi2EXadL_ZL15dequantize_q5_1PKvliR15HIP_vector_typeIfLj2EEEEiEvS1_PKiPT2_llS2_IjLj3EEmmmmmmmmm
    .private_segment_fixed_size: 0
    .sgpr_count:     52
    .sgpr_spill_count: 0
    .symbol:         _ZL10k_get_rowsILi32ELi2EXadL_ZL15dequantize_q5_1PKvliR15HIP_vector_typeIfLj2EEEEiEvS1_PKiPT2_llS2_IjLj3EEmmmmmmmmm.kd
    .uniform_work_group_size: 1
    .uses_dynamic_stack: false
    .vgpr_count:     23
    .vgpr_spill_count: 0
    .wavefront_size: 64
  - .agpr_count:     0
    .args:
      - .actual_access:  read_only
        .address_space:  global
        .offset:         0
        .size:           8
        .value_kind:     global_buffer
      - .actual_access:  read_only
        .address_space:  global
        .offset:         8
        .size:           8
        .value_kind:     global_buffer
      - .actual_access:  write_only
        .address_space:  global
        .offset:         16
        .size:           8
        .value_kind:     global_buffer
      - .offset:         24
        .size:           8
        .value_kind:     by_value
      - .offset:         32
        .size:           8
        .value_kind:     by_value
      - .offset:         40
        .size:           12
        .value_kind:     by_value
      - .offset:         56
        .size:           8
        .value_kind:     by_value
      - .offset:         64
        .size:           8
        .value_kind:     by_value
      - .offset:         72
        .size:           8
        .value_kind:     by_value
      - .offset:         80
        .size:           8
        .value_kind:     by_value
      - .offset:         88
        .size:           8
        .value_kind:     by_value
      - .offset:         96
        .size:           8
        .value_kind:     by_value
      - .offset:         104
        .size:           8
        .value_kind:     by_value
      - .offset:         112
        .size:           8
        .value_kind:     by_value
      - .offset:         120
        .size:           8
        .value_kind:     by_value
      - .offset:         128
        .size:           4
        .value_kind:     hidden_block_count_x
      - .offset:         132
        .size:           4
        .value_kind:     hidden_block_count_y
      - .offset:         136
        .size:           4
        .value_kind:     hidden_block_count_z
      - .offset:         140
        .size:           2
        .value_kind:     hidden_group_size_x
      - .offset:         142
        .size:           2
        .value_kind:     hidden_group_size_y
      - .offset:         144
        .size:           2
        .value_kind:     hidden_group_size_z
      - .offset:         146
        .size:           2
        .value_kind:     hidden_remainder_x
      - .offset:         148
        .size:           2
        .value_kind:     hidden_remainder_y
      - .offset:         150
        .size:           2
        .value_kind:     hidden_remainder_z
      - .offset:         168
        .size:           8
        .value_kind:     hidden_global_offset_x
      - .offset:         176
        .size:           8
        .value_kind:     hidden_global_offset_y
      - .offset:         184
        .size:           8
        .value_kind:     hidden_global_offset_z
      - .offset:         192
        .size:           2
        .value_kind:     hidden_grid_dims
    .group_segment_fixed_size: 0
    .kernarg_segment_align: 8
    .kernarg_segment_size: 384
    .language:       OpenCL C
    .language_version:
      - 2
      - 0
    .max_flat_workgroup_size: 1024
    .name:           _ZL10k_get_rowsILi32ELi1EXadL_ZL15dequantize_q8_0PKvliR15HIP_vector_typeIfLj2EEEEiEvS1_PKiPT2_llS2_IjLj3EEmmmmmmmmm
    .private_segment_fixed_size: 0
    .sgpr_count:     52
    .sgpr_spill_count: 0
    .symbol:         _ZL10k_get_rowsILi32ELi1EXadL_ZL15dequantize_q8_0PKvliR15HIP_vector_typeIfLj2EEEEiEvS1_PKiPT2_llS2_IjLj3EEmmmmmmmmm.kd
    .uniform_work_group_size: 1
    .uses_dynamic_stack: false
    .vgpr_count:     24
    .vgpr_spill_count: 0
    .wavefront_size: 64
  - .agpr_count:     0
    .args:
      - .address_space:  global
        .offset:         0
        .size:           8
        .value_kind:     global_buffer
      - .address_space:  global
        .offset:         8
        .size:           8
        .value_kind:     global_buffer
      - .address_space:  global
        .offset:         16
        .size:           8
        .value_kind:     global_buffer
      - .offset:         24
        .size:           8
        .value_kind:     by_value
      - .offset:         32
        .size:           8
        .value_kind:     by_value
      - .offset:         40
        .size:           12
        .value_kind:     by_value
      - .offset:         56
        .size:           8
        .value_kind:     by_value
      - .offset:         64
        .size:           8
        .value_kind:     by_value
      - .offset:         72
        .size:           8
        .value_kind:     by_value
      - .offset:         80
        .size:           8
        .value_kind:     by_value
      - .offset:         88
        .size:           8
        .value_kind:     by_value
      - .offset:         96
        .size:           8
        .value_kind:     by_value
      - .offset:         104
        .size:           8
        .value_kind:     by_value
      - .offset:         112
        .size:           8
        .value_kind:     by_value
      - .offset:         120
        .size:           8
        .value_kind:     by_value
      - .offset:         128
        .size:           4
        .value_kind:     hidden_block_count_x
      - .offset:         132
        .size:           4
        .value_kind:     hidden_block_count_y
      - .offset:         136
        .size:           4
        .value_kind:     hidden_block_count_z
      - .offset:         140
        .size:           2
        .value_kind:     hidden_group_size_x
      - .offset:         142
        .size:           2
        .value_kind:     hidden_group_size_y
      - .offset:         144
        .size:           2
        .value_kind:     hidden_group_size_z
      - .offset:         146
        .size:           2
        .value_kind:     hidden_remainder_x
      - .offset:         148
        .size:           2
        .value_kind:     hidden_remainder_y
      - .offset:         150
        .size:           2
        .value_kind:     hidden_remainder_z
      - .offset:         168
        .size:           8
        .value_kind:     hidden_global_offset_x
      - .offset:         176
        .size:           8
        .value_kind:     hidden_global_offset_y
      - .offset:         184
        .size:           8
        .value_kind:     hidden_global_offset_z
      - .offset:         192
        .size:           2
        .value_kind:     hidden_grid_dims
    .group_segment_fixed_size: 0
    .kernarg_segment_align: 8
    .kernarg_segment_size: 384
    .language:       OpenCL C
    .language_version:
      - 2
      - 0
    .max_flat_workgroup_size: 1024
    .name:           _ZL16k_get_rows_floatI6__halfS0_EvPKT_PKiPT0_ll15HIP_vector_typeIjLj3EEmmmmmmmmm
    .private_segment_fixed_size: 0
    .sgpr_count:     48
    .sgpr_spill_count: 0
    .symbol:         _ZL16k_get_rows_floatI6__halfS0_EvPKT_PKiPT0_ll15HIP_vector_typeIjLj3EEmmmmmmmmm.kd
    .uniform_work_group_size: 1
    .uses_dynamic_stack: false
    .vgpr_count:     20
    .vgpr_spill_count: 0
    .wavefront_size: 64
  - .agpr_count:     0
    .args:
      - .address_space:  global
        .offset:         0
        .size:           8
        .value_kind:     global_buffer
      - .address_space:  global
        .offset:         8
        .size:           8
        .value_kind:     global_buffer
      - .address_space:  global
        .offset:         16
        .size:           8
        .value_kind:     global_buffer
      - .offset:         24
        .size:           8
        .value_kind:     by_value
      - .offset:         32
        .size:           8
        .value_kind:     by_value
      - .offset:         40
        .size:           12
        .value_kind:     by_value
      - .offset:         56
        .size:           8
        .value_kind:     by_value
      - .offset:         64
        .size:           8
        .value_kind:     by_value
      - .offset:         72
        .size:           8
        .value_kind:     by_value
      - .offset:         80
        .size:           8
        .value_kind:     by_value
      - .offset:         88
        .size:           8
        .value_kind:     by_value
      - .offset:         96
        .size:           8
        .value_kind:     by_value
      - .offset:         104
        .size:           8
        .value_kind:     by_value
      - .offset:         112
        .size:           8
        .value_kind:     by_value
      - .offset:         120
        .size:           8
        .value_kind:     by_value
      - .offset:         128
        .size:           4
        .value_kind:     hidden_block_count_x
      - .offset:         132
        .size:           4
        .value_kind:     hidden_block_count_y
      - .offset:         136
        .size:           4
        .value_kind:     hidden_block_count_z
      - .offset:         140
        .size:           2
        .value_kind:     hidden_group_size_x
      - .offset:         142
        .size:           2
        .value_kind:     hidden_group_size_y
      - .offset:         144
        .size:           2
        .value_kind:     hidden_group_size_z
      - .offset:         146
        .size:           2
        .value_kind:     hidden_remainder_x
      - .offset:         148
        .size:           2
        .value_kind:     hidden_remainder_y
      - .offset:         150
        .size:           2
        .value_kind:     hidden_remainder_z
      - .offset:         168
        .size:           8
        .value_kind:     hidden_global_offset_x
      - .offset:         176
        .size:           8
        .value_kind:     hidden_global_offset_y
      - .offset:         184
        .size:           8
        .value_kind:     hidden_global_offset_z
      - .offset:         192
        .size:           2
        .value_kind:     hidden_grid_dims
    .group_segment_fixed_size: 0
    .kernarg_segment_align: 8
    .kernarg_segment_size: 384
    .language:       OpenCL C
    .language_version:
      - 2
      - 0
    .max_flat_workgroup_size: 1024
    .name:           _ZL16k_get_rows_floatIf6__halfEvPKT_PKiPT0_ll15HIP_vector_typeIjLj3EEmmmmmmmmm
    .private_segment_fixed_size: 0
    .sgpr_count:     48
    .sgpr_spill_count: 0
    .symbol:         _ZL16k_get_rows_floatIf6__halfEvPKT_PKiPT0_ll15HIP_vector_typeIjLj3EEmmmmmmmmm.kd
    .uniform_work_group_size: 1
    .uses_dynamic_stack: false
    .vgpr_count:     22
    .vgpr_spill_count: 0
    .wavefront_size: 64
  - .agpr_count:     0
    .args:
      - .address_space:  global
        .offset:         0
        .size:           8
        .value_kind:     global_buffer
      - .address_space:  global
        .offset:         8
        .size:           8
        .value_kind:     global_buffer
      - .address_space:  global
        .offset:         16
        .size:           8
        .value_kind:     global_buffer
      - .offset:         24
        .size:           8
        .value_kind:     by_value
      - .offset:         32
        .size:           8
        .value_kind:     by_value
      - .offset:         40
        .size:           12
        .value_kind:     by_value
      - .offset:         56
        .size:           8
        .value_kind:     by_value
      - .offset:         64
        .size:           8
        .value_kind:     by_value
      - .offset:         72
        .size:           8
        .value_kind:     by_value
      - .offset:         80
        .size:           8
        .value_kind:     by_value
      - .offset:         88
        .size:           8
        .value_kind:     by_value
      - .offset:         96
        .size:           8
        .value_kind:     by_value
      - .offset:         104
        .size:           8
        .value_kind:     by_value
      - .offset:         112
        .size:           8
        .value_kind:     by_value
      - .offset:         120
        .size:           8
        .value_kind:     by_value
      - .offset:         128
        .size:           4
        .value_kind:     hidden_block_count_x
      - .offset:         132
        .size:           4
        .value_kind:     hidden_block_count_y
      - .offset:         136
        .size:           4
        .value_kind:     hidden_block_count_z
      - .offset:         140
        .size:           2
        .value_kind:     hidden_group_size_x
      - .offset:         142
        .size:           2
        .value_kind:     hidden_group_size_y
      - .offset:         144
        .size:           2
        .value_kind:     hidden_group_size_z
      - .offset:         146
        .size:           2
        .value_kind:     hidden_remainder_x
      - .offset:         148
        .size:           2
        .value_kind:     hidden_remainder_y
      - .offset:         150
        .size:           2
        .value_kind:     hidden_remainder_z
      - .offset:         168
        .size:           8
        .value_kind:     hidden_global_offset_x
      - .offset:         176
        .size:           8
        .value_kind:     hidden_global_offset_y
      - .offset:         184
        .size:           8
        .value_kind:     hidden_global_offset_z
      - .offset:         192
        .size:           2
        .value_kind:     hidden_grid_dims
    .group_segment_fixed_size: 0
    .kernarg_segment_align: 8
    .kernarg_segment_size: 384
    .language:       OpenCL C
    .language_version:
      - 2
      - 0
    .max_flat_workgroup_size: 1024
    .name:           _ZL16k_get_rows_floatIi6__halfEvPKT_PKiPT0_ll15HIP_vector_typeIjLj3EEmmmmmmmmm
    .private_segment_fixed_size: 0
    .sgpr_count:     48
    .sgpr_spill_count: 0
    .symbol:         _ZL16k_get_rows_floatIi6__halfEvPKT_PKiPT0_ll15HIP_vector_typeIjLj3EEmmmmmmmmm.kd
    .uniform_work_group_size: 1
    .uses_dynamic_stack: false
    .vgpr_count:     22
    .vgpr_spill_count: 0
    .wavefront_size: 64
  - .agpr_count:     0
    .args:
      - .address_space:  global
        .offset:         0
        .size:           8
        .value_kind:     global_buffer
      - .address_space:  global
        .offset:         8
        .size:           8
        .value_kind:     global_buffer
      - .address_space:  global
        .offset:         16
        .size:           8
        .value_kind:     global_buffer
      - .offset:         24
        .size:           8
        .value_kind:     by_value
      - .offset:         32
        .size:           8
        .value_kind:     by_value
      - .offset:         40
        .size:           12
        .value_kind:     by_value
      - .offset:         56
        .size:           8
        .value_kind:     by_value
      - .offset:         64
        .size:           8
        .value_kind:     by_value
      - .offset:         72
        .size:           8
        .value_kind:     by_value
      - .offset:         80
        .size:           8
        .value_kind:     by_value
      - .offset:         88
        .size:           8
        .value_kind:     by_value
      - .offset:         96
        .size:           8
        .value_kind:     by_value
      - .offset:         104
        .size:           8
        .value_kind:     by_value
      - .offset:         112
        .size:           8
        .value_kind:     by_value
      - .offset:         120
        .size:           8
        .value_kind:     by_value
      - .offset:         128
        .size:           4
        .value_kind:     hidden_block_count_x
      - .offset:         132
        .size:           4
        .value_kind:     hidden_block_count_y
      - .offset:         136
        .size:           4
        .value_kind:     hidden_block_count_z
      - .offset:         140
        .size:           2
        .value_kind:     hidden_group_size_x
      - .offset:         142
        .size:           2
        .value_kind:     hidden_group_size_y
      - .offset:         144
        .size:           2
        .value_kind:     hidden_group_size_z
      - .offset:         146
        .size:           2
        .value_kind:     hidden_remainder_x
      - .offset:         148
        .size:           2
        .value_kind:     hidden_remainder_y
      - .offset:         150
        .size:           2
        .value_kind:     hidden_remainder_z
      - .offset:         168
        .size:           8
        .value_kind:     hidden_global_offset_x
      - .offset:         176
        .size:           8
        .value_kind:     hidden_global_offset_y
      - .offset:         184
        .size:           8
        .value_kind:     hidden_global_offset_z
      - .offset:         192
        .size:           2
        .value_kind:     hidden_grid_dims
    .group_segment_fixed_size: 0
    .kernarg_segment_align: 8
    .kernarg_segment_size: 384
    .language:       OpenCL C
    .language_version:
      - 2
      - 0
    .max_flat_workgroup_size: 1024
    .name:           _ZL16k_get_rows_floatI14__hip_bfloat166__halfEvPKT_PKiPT0_ll15HIP_vector_typeIjLj3EEmmmmmmmmm
    .private_segment_fixed_size: 0
    .sgpr_count:     48
    .sgpr_spill_count: 0
    .symbol:         _ZL16k_get_rows_floatI14__hip_bfloat166__halfEvPKT_PKiPT0_ll15HIP_vector_typeIjLj3EEmmmmmmmmm.kd
    .uniform_work_group_size: 1
    .uses_dynamic_stack: false
    .vgpr_count:     20
    .vgpr_spill_count: 0
    .wavefront_size: 64
  - .agpr_count:     0
    .args:
      - .actual_access:  read_only
        .address_space:  global
        .offset:         0
        .size:           8
        .value_kind:     global_buffer
      - .actual_access:  read_only
        .address_space:  global
        .offset:         8
        .size:           8
        .value_kind:     global_buffer
      - .actual_access:  write_only
        .address_space:  global
        .offset:         16
        .size:           8
        .value_kind:     global_buffer
      - .offset:         24
        .size:           8
        .value_kind:     by_value
      - .offset:         32
        .size:           8
        .value_kind:     by_value
      - .offset:         40
        .size:           12
        .value_kind:     by_value
      - .offset:         56
        .size:           8
        .value_kind:     by_value
      - .offset:         64
        .size:           8
        .value_kind:     by_value
      - .offset:         72
        .size:           8
        .value_kind:     by_value
      - .offset:         80
        .size:           8
        .value_kind:     by_value
      - .offset:         88
        .size:           8
        .value_kind:     by_value
      - .offset:         96
        .size:           8
        .value_kind:     by_value
      - .offset:         104
        .size:           8
        .value_kind:     by_value
      - .offset:         112
        .size:           8
        .value_kind:     by_value
      - .offset:         120
        .size:           8
        .value_kind:     by_value
      - .offset:         128
        .size:           4
        .value_kind:     hidden_block_count_x
      - .offset:         132
        .size:           4
        .value_kind:     hidden_block_count_y
      - .offset:         136
        .size:           4
        .value_kind:     hidden_block_count_z
      - .offset:         140
        .size:           2
        .value_kind:     hidden_group_size_x
      - .offset:         142
        .size:           2
        .value_kind:     hidden_group_size_y
      - .offset:         144
        .size:           2
        .value_kind:     hidden_group_size_z
      - .offset:         146
        .size:           2
        .value_kind:     hidden_remainder_x
      - .offset:         148
        .size:           2
        .value_kind:     hidden_remainder_y
      - .offset:         150
        .size:           2
        .value_kind:     hidden_remainder_z
      - .offset:         168
        .size:           8
        .value_kind:     hidden_global_offset_x
      - .offset:         176
        .size:           8
        .value_kind:     hidden_global_offset_y
      - .offset:         184
        .size:           8
        .value_kind:     hidden_global_offset_z
      - .offset:         192
        .size:           2
        .value_kind:     hidden_grid_dims
    .group_segment_fixed_size: 0
    .kernarg_segment_align: 8
    .kernarg_segment_size: 384
    .language:       OpenCL C
    .language_version:
      - 2
      - 0
    .max_flat_workgroup_size: 1024
    .name:           _ZL10k_get_rowsILi128ELi1EXadL_ZL15dequantize_q1_0PKvliR15HIP_vector_typeIfLj2EEEE6__halfEvS1_PKiPT2_llS2_IjLj3EEmmmmmmmmm
    .private_segment_fixed_size: 0
    .sgpr_count:     52
    .sgpr_spill_count: 0
    .symbol:         _ZL10k_get_rowsILi128ELi1EXadL_ZL15dequantize_q1_0PKvliR15HIP_vector_typeIfLj2EEEE6__halfEvS1_PKiPT2_llS2_IjLj3EEmmmmmmmmm.kd
    .uniform_work_group_size: 1
    .uses_dynamic_stack: false
    .vgpr_count:     25
    .vgpr_spill_count: 0
    .wavefront_size: 64
  - .agpr_count:     0
    .args:
      - .actual_access:  read_only
        .address_space:  global
        .offset:         0
        .size:           8
        .value_kind:     global_buffer
      - .actual_access:  read_only
        .address_space:  global
        .offset:         8
        .size:           8
        .value_kind:     global_buffer
      - .actual_access:  write_only
        .address_space:  global
        .offset:         16
        .size:           8
        .value_kind:     global_buffer
      - .offset:         24
        .size:           8
        .value_kind:     by_value
      - .offset:         32
        .size:           8
        .value_kind:     by_value
      - .offset:         40
        .size:           12
        .value_kind:     by_value
      - .offset:         56
        .size:           8
        .value_kind:     by_value
      - .offset:         64
        .size:           8
        .value_kind:     by_value
      - .offset:         72
        .size:           8
        .value_kind:     by_value
      - .offset:         80
        .size:           8
        .value_kind:     by_value
      - .offset:         88
        .size:           8
        .value_kind:     by_value
      - .offset:         96
        .size:           8
        .value_kind:     by_value
      - .offset:         104
        .size:           8
        .value_kind:     by_value
      - .offset:         112
        .size:           8
        .value_kind:     by_value
      - .offset:         120
        .size:           8
        .value_kind:     by_value
      - .offset:         128
        .size:           4
        .value_kind:     hidden_block_count_x
      - .offset:         132
        .size:           4
        .value_kind:     hidden_block_count_y
      - .offset:         136
        .size:           4
        .value_kind:     hidden_block_count_z
      - .offset:         140
        .size:           2
        .value_kind:     hidden_group_size_x
      - .offset:         142
        .size:           2
        .value_kind:     hidden_group_size_y
      - .offset:         144
        .size:           2
        .value_kind:     hidden_group_size_z
      - .offset:         146
        .size:           2
        .value_kind:     hidden_remainder_x
      - .offset:         148
        .size:           2
        .value_kind:     hidden_remainder_y
      - .offset:         150
        .size:           2
        .value_kind:     hidden_remainder_z
      - .offset:         168
        .size:           8
        .value_kind:     hidden_global_offset_x
      - .offset:         176
        .size:           8
        .value_kind:     hidden_global_offset_y
      - .offset:         184
        .size:           8
        .value_kind:     hidden_global_offset_z
      - .offset:         192
        .size:           2
        .value_kind:     hidden_grid_dims
    .group_segment_fixed_size: 0
    .kernarg_segment_align: 8
    .kernarg_segment_size: 384
    .language:       OpenCL C
    .language_version:
      - 2
      - 0
    .max_flat_workgroup_size: 1024
    .name:           _ZL10k_get_rowsILi32ELi2EXadL_ZL15dequantize_q4_0PKvliR15HIP_vector_typeIfLj2EEEE6__halfEvS1_PKiPT2_llS2_IjLj3EEmmmmmmmmm
    .private_segment_fixed_size: 0
    .sgpr_count:     52
    .sgpr_spill_count: 0
    .symbol:         _ZL10k_get_rowsILi32ELi2EXadL_ZL15dequantize_q4_0PKvliR15HIP_vector_typeIfLj2EEEE6__halfEvS1_PKiPT2_llS2_IjLj3EEmmmmmmmmm.kd
    .uniform_work_group_size: 1
    .uses_dynamic_stack: false
    .vgpr_count:     20
    .vgpr_spill_count: 0
    .wavefront_size: 64
  - .agpr_count:     0
    .args:
      - .actual_access:  read_only
        .address_space:  global
        .offset:         0
        .size:           8
        .value_kind:     global_buffer
      - .actual_access:  read_only
        .address_space:  global
        .offset:         8
        .size:           8
        .value_kind:     global_buffer
      - .actual_access:  write_only
        .address_space:  global
        .offset:         16
        .size:           8
        .value_kind:     global_buffer
      - .offset:         24
        .size:           8
        .value_kind:     by_value
      - .offset:         32
        .size:           8
        .value_kind:     by_value
      - .offset:         40
        .size:           12
        .value_kind:     by_value
      - .offset:         56
        .size:           8
        .value_kind:     by_value
      - .offset:         64
        .size:           8
        .value_kind:     by_value
      - .offset:         72
        .size:           8
        .value_kind:     by_value
      - .offset:         80
        .size:           8
        .value_kind:     by_value
      - .offset:         88
        .size:           8
        .value_kind:     by_value
      - .offset:         96
        .size:           8
        .value_kind:     by_value
      - .offset:         104
        .size:           8
        .value_kind:     by_value
      - .offset:         112
        .size:           8
        .value_kind:     by_value
      - .offset:         120
        .size:           8
        .value_kind:     by_value
      - .offset:         128
        .size:           4
        .value_kind:     hidden_block_count_x
      - .offset:         132
        .size:           4
        .value_kind:     hidden_block_count_y
      - .offset:         136
        .size:           4
        .value_kind:     hidden_block_count_z
      - .offset:         140
        .size:           2
        .value_kind:     hidden_group_size_x
      - .offset:         142
        .size:           2
        .value_kind:     hidden_group_size_y
      - .offset:         144
        .size:           2
        .value_kind:     hidden_group_size_z
      - .offset:         146
        .size:           2
        .value_kind:     hidden_remainder_x
      - .offset:         148
        .size:           2
        .value_kind:     hidden_remainder_y
      - .offset:         150
        .size:           2
        .value_kind:     hidden_remainder_z
      - .offset:         168
        .size:           8
        .value_kind:     hidden_global_offset_x
      - .offset:         176
        .size:           8
        .value_kind:     hidden_global_offset_y
      - .offset:         184
        .size:           8
        .value_kind:     hidden_global_offset_z
      - .offset:         192
        .size:           2
        .value_kind:     hidden_grid_dims
    .group_segment_fixed_size: 0
    .kernarg_segment_align: 8
    .kernarg_segment_size: 384
    .language:       OpenCL C
    .language_version:
      - 2
      - 0
    .max_flat_workgroup_size: 1024
    .name:           _ZL10k_get_rowsILi32ELi2EXadL_ZL15dequantize_q4_1PKvliR15HIP_vector_typeIfLj2EEEE6__halfEvS1_PKiPT2_llS2_IjLj3EEmmmmmmmmm
    .private_segment_fixed_size: 0
    .sgpr_count:     52
    .sgpr_spill_count: 0
    .symbol:         _ZL10k_get_rowsILi32ELi2EXadL_ZL15dequantize_q4_1PKvliR15HIP_vector_typeIfLj2EEEE6__halfEvS1_PKiPT2_llS2_IjLj3EEmmmmmmmmm.kd
    .uniform_work_group_size: 1
    .uses_dynamic_stack: false
    .vgpr_count:     20
    .vgpr_spill_count: 0
    .wavefront_size: 64
  - .agpr_count:     0
    .args:
      - .actual_access:  read_only
        .address_space:  global
        .offset:         0
        .size:           8
        .value_kind:     global_buffer
      - .actual_access:  read_only
        .address_space:  global
        .offset:         8
        .size:           8
        .value_kind:     global_buffer
      - .actual_access:  write_only
        .address_space:  global
        .offset:         16
        .size:           8
        .value_kind:     global_buffer
      - .offset:         24
        .size:           8
        .value_kind:     by_value
      - .offset:         32
        .size:           8
        .value_kind:     by_value
      - .offset:         40
        .size:           12
        .value_kind:     by_value
      - .offset:         56
        .size:           8
        .value_kind:     by_value
      - .offset:         64
        .size:           8
        .value_kind:     by_value
      - .offset:         72
        .size:           8
        .value_kind:     by_value
      - .offset:         80
        .size:           8
        .value_kind:     by_value
      - .offset:         88
        .size:           8
        .value_kind:     by_value
      - .offset:         96
        .size:           8
        .value_kind:     by_value
      - .offset:         104
        .size:           8
        .value_kind:     by_value
      - .offset:         112
        .size:           8
        .value_kind:     by_value
      - .offset:         120
        .size:           8
        .value_kind:     by_value
      - .offset:         128
        .size:           4
        .value_kind:     hidden_block_count_x
      - .offset:         132
        .size:           4
        .value_kind:     hidden_block_count_y
      - .offset:         136
        .size:           4
        .value_kind:     hidden_block_count_z
      - .offset:         140
        .size:           2
        .value_kind:     hidden_group_size_x
      - .offset:         142
        .size:           2
        .value_kind:     hidden_group_size_y
      - .offset:         144
        .size:           2
        .value_kind:     hidden_group_size_z
      - .offset:         146
        .size:           2
        .value_kind:     hidden_remainder_x
      - .offset:         148
        .size:           2
        .value_kind:     hidden_remainder_y
      - .offset:         150
        .size:           2
        .value_kind:     hidden_remainder_z
      - .offset:         168
        .size:           8
        .value_kind:     hidden_global_offset_x
      - .offset:         176
        .size:           8
        .value_kind:     hidden_global_offset_y
      - .offset:         184
        .size:           8
        .value_kind:     hidden_global_offset_z
      - .offset:         192
        .size:           2
        .value_kind:     hidden_grid_dims
    .group_segment_fixed_size: 0
    .kernarg_segment_align: 8
    .kernarg_segment_size: 384
    .language:       OpenCL C
    .language_version:
      - 2
      - 0
    .max_flat_workgroup_size: 1024
    .name:           _ZL10k_get_rowsILi32ELi2EXadL_ZL15dequantize_q5_0PKvliR15HIP_vector_typeIfLj2EEEE6__halfEvS1_PKiPT2_llS2_IjLj3EEmmmmmmmmm
    .private_segment_fixed_size: 0
    .sgpr_count:     54
    .sgpr_spill_count: 0
    .symbol:         _ZL10k_get_rowsILi32ELi2EXadL_ZL15dequantize_q5_0PKvliR15HIP_vector_typeIfLj2EEEE6__halfEvS1_PKiPT2_llS2_IjLj3EEmmmmmmmmm.kd
    .uniform_work_group_size: 1
    .uses_dynamic_stack: false
    .vgpr_count:     20
    .vgpr_spill_count: 0
    .wavefront_size: 64
  - .agpr_count:     0
    .args:
      - .actual_access:  read_only
        .address_space:  global
        .offset:         0
        .size:           8
        .value_kind:     global_buffer
      - .actual_access:  read_only
        .address_space:  global
        .offset:         8
        .size:           8
        .value_kind:     global_buffer
      - .actual_access:  write_only
        .address_space:  global
        .offset:         16
        .size:           8
        .value_kind:     global_buffer
      - .offset:         24
        .size:           8
        .value_kind:     by_value
      - .offset:         32
        .size:           8
        .value_kind:     by_value
      - .offset:         40
        .size:           12
        .value_kind:     by_value
      - .offset:         56
        .size:           8
        .value_kind:     by_value
      - .offset:         64
        .size:           8
        .value_kind:     by_value
      - .offset:         72
        .size:           8
        .value_kind:     by_value
      - .offset:         80
        .size:           8
        .value_kind:     by_value
      - .offset:         88
        .size:           8
        .value_kind:     by_value
      - .offset:         96
        .size:           8
        .value_kind:     by_value
      - .offset:         104
        .size:           8
        .value_kind:     by_value
      - .offset:         112
        .size:           8
        .value_kind:     by_value
      - .offset:         120
        .size:           8
        .value_kind:     by_value
      - .offset:         128
        .size:           4
        .value_kind:     hidden_block_count_x
      - .offset:         132
        .size:           4
        .value_kind:     hidden_block_count_y
      - .offset:         136
        .size:           4
        .value_kind:     hidden_block_count_z
      - .offset:         140
        .size:           2
        .value_kind:     hidden_group_size_x
      - .offset:         142
        .size:           2
        .value_kind:     hidden_group_size_y
      - .offset:         144
        .size:           2
        .value_kind:     hidden_group_size_z
      - .offset:         146
        .size:           2
        .value_kind:     hidden_remainder_x
      - .offset:         148
        .size:           2
        .value_kind:     hidden_remainder_y
      - .offset:         150
        .size:           2
        .value_kind:     hidden_remainder_z
      - .offset:         168
        .size:           8
        .value_kind:     hidden_global_offset_x
      - .offset:         176
        .size:           8
        .value_kind:     hidden_global_offset_y
      - .offset:         184
        .size:           8
        .value_kind:     hidden_global_offset_z
      - .offset:         192
        .size:           2
        .value_kind:     hidden_grid_dims
    .group_segment_fixed_size: 0
    .kernarg_segment_align: 8
    .kernarg_segment_size: 384
    .language:       OpenCL C
    .language_version:
      - 2
      - 0
    .max_flat_workgroup_size: 1024
    .name:           _ZL10k_get_rowsILi32ELi2EXadL_ZL15dequantize_q5_1PKvliR15HIP_vector_typeIfLj2EEEE6__halfEvS1_PKiPT2_llS2_IjLj3EEmmmmmmmmm
    .private_segment_fixed_size: 0
    .sgpr_count:     52
    .sgpr_spill_count: 0
    .symbol:         _ZL10k_get_rowsILi32ELi2EXadL_ZL15dequantize_q5_1PKvliR15HIP_vector_typeIfLj2EEEE6__halfEvS1_PKiPT2_llS2_IjLj3EEmmmmmmmmm.kd
    .uniform_work_group_size: 1
    .uses_dynamic_stack: false
    .vgpr_count:     23
    .vgpr_spill_count: 0
    .wavefront_size: 64
  - .agpr_count:     0
    .args:
      - .actual_access:  read_only
        .address_space:  global
        .offset:         0
        .size:           8
        .value_kind:     global_buffer
      - .actual_access:  read_only
        .address_space:  global
        .offset:         8
        .size:           8
        .value_kind:     global_buffer
      - .actual_access:  write_only
        .address_space:  global
        .offset:         16
        .size:           8
        .value_kind:     global_buffer
      - .offset:         24
        .size:           8
        .value_kind:     by_value
      - .offset:         32
        .size:           8
        .value_kind:     by_value
      - .offset:         40
        .size:           12
        .value_kind:     by_value
      - .offset:         56
        .size:           8
        .value_kind:     by_value
      - .offset:         64
        .size:           8
        .value_kind:     by_value
      - .offset:         72
        .size:           8
        .value_kind:     by_value
      - .offset:         80
        .size:           8
        .value_kind:     by_value
      - .offset:         88
        .size:           8
        .value_kind:     by_value
      - .offset:         96
        .size:           8
        .value_kind:     by_value
      - .offset:         104
        .size:           8
        .value_kind:     by_value
      - .offset:         112
        .size:           8
        .value_kind:     by_value
      - .offset:         120
        .size:           8
        .value_kind:     by_value
      - .offset:         128
        .size:           4
        .value_kind:     hidden_block_count_x
      - .offset:         132
        .size:           4
        .value_kind:     hidden_block_count_y
      - .offset:         136
        .size:           4
        .value_kind:     hidden_block_count_z
      - .offset:         140
        .size:           2
        .value_kind:     hidden_group_size_x
      - .offset:         142
        .size:           2
        .value_kind:     hidden_group_size_y
      - .offset:         144
        .size:           2
        .value_kind:     hidden_group_size_z
      - .offset:         146
        .size:           2
        .value_kind:     hidden_remainder_x
      - .offset:         148
        .size:           2
        .value_kind:     hidden_remainder_y
      - .offset:         150
        .size:           2
        .value_kind:     hidden_remainder_z
      - .offset:         168
        .size:           8
        .value_kind:     hidden_global_offset_x
      - .offset:         176
        .size:           8
        .value_kind:     hidden_global_offset_y
      - .offset:         184
        .size:           8
        .value_kind:     hidden_global_offset_z
      - .offset:         192
        .size:           2
        .value_kind:     hidden_grid_dims
    .group_segment_fixed_size: 0
    .kernarg_segment_align: 8
    .kernarg_segment_size: 384
    .language:       OpenCL C
    .language_version:
      - 2
      - 0
    .max_flat_workgroup_size: 1024
    .name:           _ZL10k_get_rowsILi32ELi1EXadL_ZL15dequantize_q8_0PKvliR15HIP_vector_typeIfLj2EEEE6__halfEvS1_PKiPT2_llS2_IjLj3EEmmmmmmmmm
    .private_segment_fixed_size: 0
    .sgpr_count:     52
    .sgpr_spill_count: 0
    .symbol:         _ZL10k_get_rowsILi32ELi1EXadL_ZL15dequantize_q8_0PKvliR15HIP_vector_typeIfLj2EEEE6__halfEvS1_PKiPT2_llS2_IjLj3EEmmmmmmmmm.kd
    .uniform_work_group_size: 1
    .uses_dynamic_stack: false
    .vgpr_count:     24
    .vgpr_spill_count: 0
    .wavefront_size: 64
  - .agpr_count:     0
    .args:
      - .address_space:  global
        .offset:         0
        .size:           8
        .value_kind:     global_buffer
      - .address_space:  global
        .offset:         8
        .size:           8
        .value_kind:     global_buffer
      - .address_space:  global
        .offset:         16
        .size:           8
        .value_kind:     global_buffer
      - .offset:         24
        .size:           8
        .value_kind:     by_value
      - .offset:         32
        .size:           8
        .value_kind:     by_value
      - .offset:         40
        .size:           12
        .value_kind:     by_value
      - .offset:         56
        .size:           8
        .value_kind:     by_value
      - .offset:         64
        .size:           8
        .value_kind:     by_value
      - .offset:         72
        .size:           8
        .value_kind:     by_value
      - .offset:         80
        .size:           8
        .value_kind:     by_value
      - .offset:         88
        .size:           8
        .value_kind:     by_value
      - .offset:         96
        .size:           8
        .value_kind:     by_value
      - .offset:         104
        .size:           8
        .value_kind:     by_value
      - .offset:         112
        .size:           8
        .value_kind:     by_value
      - .offset:         120
        .size:           8
        .value_kind:     by_value
      - .offset:         128
        .size:           4
        .value_kind:     hidden_block_count_x
      - .offset:         132
        .size:           4
        .value_kind:     hidden_block_count_y
      - .offset:         136
        .size:           4
        .value_kind:     hidden_block_count_z
      - .offset:         140
        .size:           2
        .value_kind:     hidden_group_size_x
      - .offset:         142
        .size:           2
        .value_kind:     hidden_group_size_y
      - .offset:         144
        .size:           2
        .value_kind:     hidden_group_size_z
      - .offset:         146
        .size:           2
        .value_kind:     hidden_remainder_x
      - .offset:         148
        .size:           2
        .value_kind:     hidden_remainder_y
      - .offset:         150
        .size:           2
        .value_kind:     hidden_remainder_z
      - .offset:         168
        .size:           8
        .value_kind:     hidden_global_offset_x
      - .offset:         176
        .size:           8
        .value_kind:     hidden_global_offset_y
      - .offset:         184
        .size:           8
        .value_kind:     hidden_global_offset_z
      - .offset:         192
        .size:           2
        .value_kind:     hidden_grid_dims
    .group_segment_fixed_size: 0
    .kernarg_segment_align: 8
    .kernarg_segment_size: 384
    .language:       OpenCL C
    .language_version:
      - 2
      - 0
    .max_flat_workgroup_size: 1024
    .name:           _ZL16k_get_rows_floatI6__half14__hip_bfloat16EvPKT_PKiPT0_ll15HIP_vector_typeIjLj3EEmmmmmmmmm
    .private_segment_fixed_size: 0
    .sgpr_count:     50
    .sgpr_spill_count: 0
    .symbol:         _ZL16k_get_rows_floatI6__half14__hip_bfloat16EvPKT_PKiPT0_ll15HIP_vector_typeIjLj3EEmmmmmmmmm.kd
    .uniform_work_group_size: 1
    .uses_dynamic_stack: false
    .vgpr_count:     18
    .vgpr_spill_count: 0
    .wavefront_size: 64
  - .agpr_count:     0
    .args:
      - .address_space:  global
        .offset:         0
        .size:           8
        .value_kind:     global_buffer
      - .address_space:  global
        .offset:         8
        .size:           8
        .value_kind:     global_buffer
      - .address_space:  global
        .offset:         16
        .size:           8
        .value_kind:     global_buffer
      - .offset:         24
        .size:           8
        .value_kind:     by_value
      - .offset:         32
        .size:           8
        .value_kind:     by_value
      - .offset:         40
        .size:           12
        .value_kind:     by_value
      - .offset:         56
        .size:           8
        .value_kind:     by_value
      - .offset:         64
        .size:           8
        .value_kind:     by_value
      - .offset:         72
        .size:           8
        .value_kind:     by_value
      - .offset:         80
        .size:           8
        .value_kind:     by_value
      - .offset:         88
        .size:           8
        .value_kind:     by_value
      - .offset:         96
        .size:           8
        .value_kind:     by_value
      - .offset:         104
        .size:           8
        .value_kind:     by_value
      - .offset:         112
        .size:           8
        .value_kind:     by_value
      - .offset:         120
        .size:           8
        .value_kind:     by_value
      - .offset:         128
        .size:           4
        .value_kind:     hidden_block_count_x
      - .offset:         132
        .size:           4
        .value_kind:     hidden_block_count_y
      - .offset:         136
        .size:           4
        .value_kind:     hidden_block_count_z
      - .offset:         140
        .size:           2
        .value_kind:     hidden_group_size_x
      - .offset:         142
        .size:           2
        .value_kind:     hidden_group_size_y
      - .offset:         144
        .size:           2
        .value_kind:     hidden_group_size_z
      - .offset:         146
        .size:           2
        .value_kind:     hidden_remainder_x
      - .offset:         148
        .size:           2
        .value_kind:     hidden_remainder_y
      - .offset:         150
        .size:           2
        .value_kind:     hidden_remainder_z
      - .offset:         168
        .size:           8
        .value_kind:     hidden_global_offset_x
      - .offset:         176
        .size:           8
        .value_kind:     hidden_global_offset_y
      - .offset:         184
        .size:           8
        .value_kind:     hidden_global_offset_z
      - .offset:         192
        .size:           2
        .value_kind:     hidden_grid_dims
    .group_segment_fixed_size: 0
    .kernarg_segment_align: 8
    .kernarg_segment_size: 384
    .language:       OpenCL C
    .language_version:
      - 2
      - 0
    .max_flat_workgroup_size: 1024
    .name:           _ZL16k_get_rows_floatIf14__hip_bfloat16EvPKT_PKiPT0_ll15HIP_vector_typeIjLj3EEmmmmmmmmm
    .private_segment_fixed_size: 0
    .sgpr_count:     78
    .sgpr_spill_count: 0
    .symbol:         _ZL16k_get_rows_floatIf14__hip_bfloat16EvPKT_PKiPT0_ll15HIP_vector_typeIjLj3EEmmmmmmmmm.kd
    .uniform_work_group_size: 1
    .uses_dynamic_stack: false
    .vgpr_count:     31
    .vgpr_spill_count: 0
    .wavefront_size: 64
  - .agpr_count:     0
    .args:
      - .address_space:  global
        .offset:         0
        .size:           8
        .value_kind:     global_buffer
      - .address_space:  global
        .offset:         8
        .size:           8
        .value_kind:     global_buffer
      - .address_space:  global
        .offset:         16
        .size:           8
        .value_kind:     global_buffer
      - .offset:         24
        .size:           8
        .value_kind:     by_value
      - .offset:         32
        .size:           8
        .value_kind:     by_value
      - .offset:         40
        .size:           12
        .value_kind:     by_value
      - .offset:         56
        .size:           8
        .value_kind:     by_value
      - .offset:         64
        .size:           8
        .value_kind:     by_value
      - .offset:         72
        .size:           8
        .value_kind:     by_value
      - .offset:         80
        .size:           8
        .value_kind:     by_value
      - .offset:         88
        .size:           8
        .value_kind:     by_value
      - .offset:         96
        .size:           8
        .value_kind:     by_value
      - .offset:         104
        .size:           8
        .value_kind:     by_value
      - .offset:         112
        .size:           8
        .value_kind:     by_value
      - .offset:         120
        .size:           8
        .value_kind:     by_value
      - .offset:         128
        .size:           4
        .value_kind:     hidden_block_count_x
      - .offset:         132
        .size:           4
        .value_kind:     hidden_block_count_y
      - .offset:         136
        .size:           4
        .value_kind:     hidden_block_count_z
      - .offset:         140
        .size:           2
        .value_kind:     hidden_group_size_x
      - .offset:         142
        .size:           2
        .value_kind:     hidden_group_size_y
      - .offset:         144
        .size:           2
        .value_kind:     hidden_group_size_z
      - .offset:         146
        .size:           2
        .value_kind:     hidden_remainder_x
      - .offset:         148
        .size:           2
        .value_kind:     hidden_remainder_y
      - .offset:         150
        .size:           2
        .value_kind:     hidden_remainder_z
      - .offset:         168
        .size:           8
        .value_kind:     hidden_global_offset_x
      - .offset:         176
        .size:           8
        .value_kind:     hidden_global_offset_y
      - .offset:         184
        .size:           8
        .value_kind:     hidden_global_offset_z
      - .offset:         192
        .size:           2
        .value_kind:     hidden_grid_dims
    .group_segment_fixed_size: 0
    .kernarg_segment_align: 8
    .kernarg_segment_size: 384
    .language:       OpenCL C
    .language_version:
      - 2
      - 0
    .max_flat_workgroup_size: 1024
    .name:           _ZL16k_get_rows_floatIi14__hip_bfloat16EvPKT_PKiPT0_ll15HIP_vector_typeIjLj3EEmmmmmmmmm
    .private_segment_fixed_size: 0
    .sgpr_count:     78
    .sgpr_spill_count: 0
    .symbol:         _ZL16k_get_rows_floatIi14__hip_bfloat16EvPKT_PKiPT0_ll15HIP_vector_typeIjLj3EEmmmmmmmmm.kd
    .uniform_work_group_size: 1
    .uses_dynamic_stack: false
    .vgpr_count:     31
    .vgpr_spill_count: 0
    .wavefront_size: 64
  - .agpr_count:     0
    .args:
      - .address_space:  global
        .offset:         0
        .size:           8
        .value_kind:     global_buffer
      - .address_space:  global
        .offset:         8
        .size:           8
        .value_kind:     global_buffer
      - .address_space:  global
        .offset:         16
        .size:           8
        .value_kind:     global_buffer
      - .offset:         24
        .size:           8
        .value_kind:     by_value
      - .offset:         32
        .size:           8
        .value_kind:     by_value
      - .offset:         40
        .size:           12
        .value_kind:     by_value
      - .offset:         56
        .size:           8
        .value_kind:     by_value
      - .offset:         64
        .size:           8
        .value_kind:     by_value
      - .offset:         72
        .size:           8
        .value_kind:     by_value
      - .offset:         80
        .size:           8
        .value_kind:     by_value
      - .offset:         88
        .size:           8
        .value_kind:     by_value
      - .offset:         96
        .size:           8
        .value_kind:     by_value
      - .offset:         104
        .size:           8
        .value_kind:     by_value
      - .offset:         112
        .size:           8
        .value_kind:     by_value
      - .offset:         120
        .size:           8
        .value_kind:     by_value
      - .offset:         128
        .size:           4
        .value_kind:     hidden_block_count_x
      - .offset:         132
        .size:           4
        .value_kind:     hidden_block_count_y
      - .offset:         136
        .size:           4
        .value_kind:     hidden_block_count_z
      - .offset:         140
        .size:           2
        .value_kind:     hidden_group_size_x
      - .offset:         142
        .size:           2
        .value_kind:     hidden_group_size_y
      - .offset:         144
        .size:           2
        .value_kind:     hidden_group_size_z
      - .offset:         146
        .size:           2
        .value_kind:     hidden_remainder_x
      - .offset:         148
        .size:           2
        .value_kind:     hidden_remainder_y
      - .offset:         150
        .size:           2
        .value_kind:     hidden_remainder_z
      - .offset:         168
        .size:           8
        .value_kind:     hidden_global_offset_x
      - .offset:         176
        .size:           8
        .value_kind:     hidden_global_offset_y
      - .offset:         184
        .size:           8
        .value_kind:     hidden_global_offset_z
      - .offset:         192
        .size:           2
        .value_kind:     hidden_grid_dims
    .group_segment_fixed_size: 0
    .kernarg_segment_align: 8
    .kernarg_segment_size: 384
    .language:       OpenCL C
    .language_version:
      - 2
      - 0
    .max_flat_workgroup_size: 1024
    .name:           _ZL16k_get_rows_floatI14__hip_bfloat16S0_EvPKT_PKiPT0_ll15HIP_vector_typeIjLj3EEmmmmmmmmm
    .private_segment_fixed_size: 0
    .sgpr_count:     48
    .sgpr_spill_count: 0
    .symbol:         _ZL16k_get_rows_floatI14__hip_bfloat16S0_EvPKT_PKiPT0_ll15HIP_vector_typeIjLj3EEmmmmmmmmm.kd
    .uniform_work_group_size: 1
    .uses_dynamic_stack: false
    .vgpr_count:     19
    .vgpr_spill_count: 0
    .wavefront_size: 64
  - .agpr_count:     0
    .args:
      - .actual_access:  read_only
        .address_space:  global
        .offset:         0
        .size:           8
        .value_kind:     global_buffer
      - .actual_access:  read_only
        .address_space:  global
        .offset:         8
        .size:           8
        .value_kind:     global_buffer
      - .actual_access:  write_only
        .address_space:  global
        .offset:         16
        .size:           8
        .value_kind:     global_buffer
      - .offset:         24
        .size:           8
        .value_kind:     by_value
      - .offset:         32
        .size:           8
        .value_kind:     by_value
      - .offset:         40
        .size:           12
        .value_kind:     by_value
      - .offset:         56
        .size:           8
        .value_kind:     by_value
      - .offset:         64
        .size:           8
        .value_kind:     by_value
      - .offset:         72
        .size:           8
        .value_kind:     by_value
      - .offset:         80
        .size:           8
        .value_kind:     by_value
      - .offset:         88
        .size:           8
        .value_kind:     by_value
      - .offset:         96
        .size:           8
        .value_kind:     by_value
      - .offset:         104
        .size:           8
        .value_kind:     by_value
      - .offset:         112
        .size:           8
        .value_kind:     by_value
      - .offset:         120
        .size:           8
        .value_kind:     by_value
      - .offset:         128
        .size:           4
        .value_kind:     hidden_block_count_x
      - .offset:         132
        .size:           4
        .value_kind:     hidden_block_count_y
      - .offset:         136
        .size:           4
        .value_kind:     hidden_block_count_z
      - .offset:         140
        .size:           2
        .value_kind:     hidden_group_size_x
      - .offset:         142
        .size:           2
        .value_kind:     hidden_group_size_y
      - .offset:         144
        .size:           2
        .value_kind:     hidden_group_size_z
      - .offset:         146
        .size:           2
        .value_kind:     hidden_remainder_x
      - .offset:         148
        .size:           2
        .value_kind:     hidden_remainder_y
      - .offset:         150
        .size:           2
        .value_kind:     hidden_remainder_z
      - .offset:         168
        .size:           8
        .value_kind:     hidden_global_offset_x
      - .offset:         176
        .size:           8
        .value_kind:     hidden_global_offset_y
      - .offset:         184
        .size:           8
        .value_kind:     hidden_global_offset_z
      - .offset:         192
        .size:           2
        .value_kind:     hidden_grid_dims
    .group_segment_fixed_size: 0
    .kernarg_segment_align: 8
    .kernarg_segment_size: 384
    .language:       OpenCL C
    .language_version:
      - 2
      - 0
    .max_flat_workgroup_size: 1024
    .name:           _ZL10k_get_rowsILi128ELi1EXadL_ZL15dequantize_q1_0PKvliR15HIP_vector_typeIfLj2EEEE14__hip_bfloat16EvS1_PKiPT2_llS2_IjLj3EEmmmmmmmmm
    .private_segment_fixed_size: 0
    .sgpr_count:     54
    .sgpr_spill_count: 0
    .symbol:         _ZL10k_get_rowsILi128ELi1EXadL_ZL15dequantize_q1_0PKvliR15HIP_vector_typeIfLj2EEEE14__hip_bfloat16EvS1_PKiPT2_llS2_IjLj3EEmmmmmmmmm.kd
    .uniform_work_group_size: 1
    .uses_dynamic_stack: false
    .vgpr_count:     24
    .vgpr_spill_count: 0
    .wavefront_size: 64
  - .agpr_count:     0
    .args:
      - .actual_access:  read_only
        .address_space:  global
        .offset:         0
        .size:           8
        .value_kind:     global_buffer
      - .actual_access:  read_only
        .address_space:  global
        .offset:         8
        .size:           8
        .value_kind:     global_buffer
      - .actual_access:  write_only
        .address_space:  global
        .offset:         16
        .size:           8
        .value_kind:     global_buffer
      - .offset:         24
        .size:           8
        .value_kind:     by_value
      - .offset:         32
        .size:           8
        .value_kind:     by_value
      - .offset:         40
        .size:           12
        .value_kind:     by_value
      - .offset:         56
        .size:           8
        .value_kind:     by_value
      - .offset:         64
        .size:           8
        .value_kind:     by_value
      - .offset:         72
        .size:           8
        .value_kind:     by_value
      - .offset:         80
        .size:           8
        .value_kind:     by_value
      - .offset:         88
        .size:           8
        .value_kind:     by_value
      - .offset:         96
        .size:           8
        .value_kind:     by_value
      - .offset:         104
        .size:           8
        .value_kind:     by_value
      - .offset:         112
        .size:           8
        .value_kind:     by_value
      - .offset:         120
        .size:           8
        .value_kind:     by_value
      - .offset:         128
        .size:           4
        .value_kind:     hidden_block_count_x
      - .offset:         132
        .size:           4
        .value_kind:     hidden_block_count_y
      - .offset:         136
        .size:           4
        .value_kind:     hidden_block_count_z
      - .offset:         140
        .size:           2
        .value_kind:     hidden_group_size_x
      - .offset:         142
        .size:           2
        .value_kind:     hidden_group_size_y
      - .offset:         144
        .size:           2
        .value_kind:     hidden_group_size_z
      - .offset:         146
        .size:           2
        .value_kind:     hidden_remainder_x
      - .offset:         148
        .size:           2
        .value_kind:     hidden_remainder_y
      - .offset:         150
        .size:           2
        .value_kind:     hidden_remainder_z
      - .offset:         168
        .size:           8
        .value_kind:     hidden_global_offset_x
      - .offset:         176
        .size:           8
        .value_kind:     hidden_global_offset_y
      - .offset:         184
        .size:           8
        .value_kind:     hidden_global_offset_z
      - .offset:         192
        .size:           2
        .value_kind:     hidden_grid_dims
    .group_segment_fixed_size: 0
    .kernarg_segment_align: 8
    .kernarg_segment_size: 384
    .language:       OpenCL C
    .language_version:
      - 2
      - 0
    .max_flat_workgroup_size: 1024
    .name:           _ZL10k_get_rowsILi32ELi2EXadL_ZL15dequantize_q4_0PKvliR15HIP_vector_typeIfLj2EEEE14__hip_bfloat16EvS1_PKiPT2_llS2_IjLj3EEmmmmmmmmm
    .private_segment_fixed_size: 0
    .sgpr_count:     55
    .sgpr_spill_count: 0
    .symbol:         _ZL10k_get_rowsILi32ELi2EXadL_ZL15dequantize_q4_0PKvliR15HIP_vector_typeIfLj2EEEE14__hip_bfloat16EvS1_PKiPT2_llS2_IjLj3EEmmmmmmmmm.kd
    .uniform_work_group_size: 1
    .uses_dynamic_stack: false
    .vgpr_count:     20
    .vgpr_spill_count: 0
    .wavefront_size: 64
  - .agpr_count:     0
    .args:
      - .actual_access:  read_only
        .address_space:  global
        .offset:         0
        .size:           8
        .value_kind:     global_buffer
      - .actual_access:  read_only
        .address_space:  global
        .offset:         8
        .size:           8
        .value_kind:     global_buffer
      - .actual_access:  write_only
        .address_space:  global
        .offset:         16
        .size:           8
        .value_kind:     global_buffer
      - .offset:         24
        .size:           8
        .value_kind:     by_value
      - .offset:         32
        .size:           8
        .value_kind:     by_value
      - .offset:         40
        .size:           12
        .value_kind:     by_value
      - .offset:         56
        .size:           8
        .value_kind:     by_value
      - .offset:         64
        .size:           8
        .value_kind:     by_value
      - .offset:         72
        .size:           8
        .value_kind:     by_value
      - .offset:         80
        .size:           8
        .value_kind:     by_value
      - .offset:         88
        .size:           8
        .value_kind:     by_value
      - .offset:         96
        .size:           8
        .value_kind:     by_value
      - .offset:         104
        .size:           8
        .value_kind:     by_value
      - .offset:         112
        .size:           8
        .value_kind:     by_value
      - .offset:         120
        .size:           8
        .value_kind:     by_value
      - .offset:         128
        .size:           4
        .value_kind:     hidden_block_count_x
      - .offset:         132
        .size:           4
        .value_kind:     hidden_block_count_y
      - .offset:         136
        .size:           4
        .value_kind:     hidden_block_count_z
      - .offset:         140
        .size:           2
        .value_kind:     hidden_group_size_x
      - .offset:         142
        .size:           2
        .value_kind:     hidden_group_size_y
      - .offset:         144
        .size:           2
        .value_kind:     hidden_group_size_z
      - .offset:         146
        .size:           2
        .value_kind:     hidden_remainder_x
      - .offset:         148
        .size:           2
        .value_kind:     hidden_remainder_y
      - .offset:         150
        .size:           2
        .value_kind:     hidden_remainder_z
      - .offset:         168
        .size:           8
        .value_kind:     hidden_global_offset_x
      - .offset:         176
        .size:           8
        .value_kind:     hidden_global_offset_y
      - .offset:         184
        .size:           8
        .value_kind:     hidden_global_offset_z
      - .offset:         192
        .size:           2
        .value_kind:     hidden_grid_dims
    .group_segment_fixed_size: 0
    .kernarg_segment_align: 8
    .kernarg_segment_size: 384
    .language:       OpenCL C
    .language_version:
      - 2
      - 0
    .max_flat_workgroup_size: 1024
    .name:           _ZL10k_get_rowsILi32ELi2EXadL_ZL15dequantize_q4_1PKvliR15HIP_vector_typeIfLj2EEEE14__hip_bfloat16EvS1_PKiPT2_llS2_IjLj3EEmmmmmmmmm
    .private_segment_fixed_size: 0
    .sgpr_count:     55
    .sgpr_spill_count: 0
    .symbol:         _ZL10k_get_rowsILi32ELi2EXadL_ZL15dequantize_q4_1PKvliR15HIP_vector_typeIfLj2EEEE14__hip_bfloat16EvS1_PKiPT2_llS2_IjLj3EEmmmmmmmmm.kd
    .uniform_work_group_size: 1
    .uses_dynamic_stack: false
    .vgpr_count:     20
    .vgpr_spill_count: 0
    .wavefront_size: 64
  - .agpr_count:     0
    .args:
      - .actual_access:  read_only
        .address_space:  global
        .offset:         0
        .size:           8
        .value_kind:     global_buffer
      - .actual_access:  read_only
        .address_space:  global
        .offset:         8
        .size:           8
        .value_kind:     global_buffer
      - .actual_access:  write_only
        .address_space:  global
        .offset:         16
        .size:           8
        .value_kind:     global_buffer
      - .offset:         24
        .size:           8
        .value_kind:     by_value
      - .offset:         32
        .size:           8
        .value_kind:     by_value
      - .offset:         40
        .size:           12
        .value_kind:     by_value
      - .offset:         56
        .size:           8
        .value_kind:     by_value
      - .offset:         64
        .size:           8
        .value_kind:     by_value
      - .offset:         72
        .size:           8
        .value_kind:     by_value
      - .offset:         80
        .size:           8
        .value_kind:     by_value
      - .offset:         88
        .size:           8
        .value_kind:     by_value
      - .offset:         96
        .size:           8
        .value_kind:     by_value
      - .offset:         104
        .size:           8
        .value_kind:     by_value
      - .offset:         112
        .size:           8
        .value_kind:     by_value
      - .offset:         120
        .size:           8
        .value_kind:     by_value
      - .offset:         128
        .size:           4
        .value_kind:     hidden_block_count_x
      - .offset:         132
        .size:           4
        .value_kind:     hidden_block_count_y
      - .offset:         136
        .size:           4
        .value_kind:     hidden_block_count_z
      - .offset:         140
        .size:           2
        .value_kind:     hidden_group_size_x
      - .offset:         142
        .size:           2
        .value_kind:     hidden_group_size_y
      - .offset:         144
        .size:           2
        .value_kind:     hidden_group_size_z
      - .offset:         146
        .size:           2
        .value_kind:     hidden_remainder_x
      - .offset:         148
        .size:           2
        .value_kind:     hidden_remainder_y
      - .offset:         150
        .size:           2
        .value_kind:     hidden_remainder_z
      - .offset:         168
        .size:           8
        .value_kind:     hidden_global_offset_x
      - .offset:         176
        .size:           8
        .value_kind:     hidden_global_offset_y
      - .offset:         184
        .size:           8
        .value_kind:     hidden_global_offset_z
      - .offset:         192
        .size:           2
        .value_kind:     hidden_grid_dims
    .group_segment_fixed_size: 0
    .kernarg_segment_align: 8
    .kernarg_segment_size: 384
    .language:       OpenCL C
    .language_version:
      - 2
      - 0
    .max_flat_workgroup_size: 1024
    .name:           _ZL10k_get_rowsILi32ELi2EXadL_ZL15dequantize_q5_0PKvliR15HIP_vector_typeIfLj2EEEE14__hip_bfloat16EvS1_PKiPT2_llS2_IjLj3EEmmmmmmmmm
    .private_segment_fixed_size: 0
    .sgpr_count:     56
    .sgpr_spill_count: 0
    .symbol:         _ZL10k_get_rowsILi32ELi2EXadL_ZL15dequantize_q5_0PKvliR15HIP_vector_typeIfLj2EEEE14__hip_bfloat16EvS1_PKiPT2_llS2_IjLj3EEmmmmmmmmm.kd
    .uniform_work_group_size: 1
    .uses_dynamic_stack: false
    .vgpr_count:     20
    .vgpr_spill_count: 0
    .wavefront_size: 64
  - .agpr_count:     0
    .args:
      - .actual_access:  read_only
        .address_space:  global
        .offset:         0
        .size:           8
        .value_kind:     global_buffer
      - .actual_access:  read_only
        .address_space:  global
        .offset:         8
        .size:           8
        .value_kind:     global_buffer
      - .actual_access:  write_only
        .address_space:  global
        .offset:         16
        .size:           8
        .value_kind:     global_buffer
      - .offset:         24
        .size:           8
        .value_kind:     by_value
      - .offset:         32
        .size:           8
        .value_kind:     by_value
      - .offset:         40
        .size:           12
        .value_kind:     by_value
      - .offset:         56
        .size:           8
        .value_kind:     by_value
      - .offset:         64
        .size:           8
        .value_kind:     by_value
      - .offset:         72
        .size:           8
        .value_kind:     by_value
      - .offset:         80
        .size:           8
        .value_kind:     by_value
      - .offset:         88
        .size:           8
        .value_kind:     by_value
      - .offset:         96
        .size:           8
        .value_kind:     by_value
      - .offset:         104
        .size:           8
        .value_kind:     by_value
      - .offset:         112
        .size:           8
        .value_kind:     by_value
      - .offset:         120
        .size:           8
        .value_kind:     by_value
      - .offset:         128
        .size:           4
        .value_kind:     hidden_block_count_x
      - .offset:         132
        .size:           4
        .value_kind:     hidden_block_count_y
      - .offset:         136
        .size:           4
        .value_kind:     hidden_block_count_z
      - .offset:         140
        .size:           2
        .value_kind:     hidden_group_size_x
      - .offset:         142
        .size:           2
        .value_kind:     hidden_group_size_y
      - .offset:         144
        .size:           2
        .value_kind:     hidden_group_size_z
      - .offset:         146
        .size:           2
        .value_kind:     hidden_remainder_x
      - .offset:         148
        .size:           2
        .value_kind:     hidden_remainder_y
      - .offset:         150
        .size:           2
        .value_kind:     hidden_remainder_z
      - .offset:         168
        .size:           8
        .value_kind:     hidden_global_offset_x
      - .offset:         176
        .size:           8
        .value_kind:     hidden_global_offset_y
      - .offset:         184
        .size:           8
        .value_kind:     hidden_global_offset_z
      - .offset:         192
        .size:           2
        .value_kind:     hidden_grid_dims
    .group_segment_fixed_size: 0
    .kernarg_segment_align: 8
    .kernarg_segment_size: 384
    .language:       OpenCL C
    .language_version:
      - 2
      - 0
    .max_flat_workgroup_size: 1024
    .name:           _ZL10k_get_rowsILi32ELi2EXadL_ZL15dequantize_q5_1PKvliR15HIP_vector_typeIfLj2EEEE14__hip_bfloat16EvS1_PKiPT2_llS2_IjLj3EEmmmmmmmmm
    .private_segment_fixed_size: 0
    .sgpr_count:     55
    .sgpr_spill_count: 0
    .symbol:         _ZL10k_get_rowsILi32ELi2EXadL_ZL15dequantize_q5_1PKvliR15HIP_vector_typeIfLj2EEEE14__hip_bfloat16EvS1_PKiPT2_llS2_IjLj3EEmmmmmmmmm.kd
    .uniform_work_group_size: 1
    .uses_dynamic_stack: false
    .vgpr_count:     22
    .vgpr_spill_count: 0
    .wavefront_size: 64
  - .agpr_count:     0
    .args:
      - .actual_access:  read_only
        .address_space:  global
        .offset:         0
        .size:           8
        .value_kind:     global_buffer
      - .actual_access:  read_only
        .address_space:  global
        .offset:         8
        .size:           8
        .value_kind:     global_buffer
      - .actual_access:  write_only
        .address_space:  global
        .offset:         16
        .size:           8
        .value_kind:     global_buffer
      - .offset:         24
        .size:           8
        .value_kind:     by_value
      - .offset:         32
        .size:           8
        .value_kind:     by_value
      - .offset:         40
        .size:           12
        .value_kind:     by_value
      - .offset:         56
        .size:           8
        .value_kind:     by_value
      - .offset:         64
        .size:           8
        .value_kind:     by_value
      - .offset:         72
        .size:           8
        .value_kind:     by_value
      - .offset:         80
        .size:           8
        .value_kind:     by_value
      - .offset:         88
        .size:           8
        .value_kind:     by_value
      - .offset:         96
        .size:           8
        .value_kind:     by_value
      - .offset:         104
        .size:           8
        .value_kind:     by_value
      - .offset:         112
        .size:           8
        .value_kind:     by_value
      - .offset:         120
        .size:           8
        .value_kind:     by_value
      - .offset:         128
        .size:           4
        .value_kind:     hidden_block_count_x
      - .offset:         132
        .size:           4
        .value_kind:     hidden_block_count_y
      - .offset:         136
        .size:           4
        .value_kind:     hidden_block_count_z
      - .offset:         140
        .size:           2
        .value_kind:     hidden_group_size_x
      - .offset:         142
        .size:           2
        .value_kind:     hidden_group_size_y
      - .offset:         144
        .size:           2
        .value_kind:     hidden_group_size_z
      - .offset:         146
        .size:           2
        .value_kind:     hidden_remainder_x
      - .offset:         148
        .size:           2
        .value_kind:     hidden_remainder_y
      - .offset:         150
        .size:           2
        .value_kind:     hidden_remainder_z
      - .offset:         168
        .size:           8
        .value_kind:     hidden_global_offset_x
      - .offset:         176
        .size:           8
        .value_kind:     hidden_global_offset_y
      - .offset:         184
        .size:           8
        .value_kind:     hidden_global_offset_z
      - .offset:         192
        .size:           2
        .value_kind:     hidden_grid_dims
    .group_segment_fixed_size: 0
    .kernarg_segment_align: 8
    .kernarg_segment_size: 384
    .language:       OpenCL C
    .language_version:
      - 2
      - 0
    .max_flat_workgroup_size: 1024
    .name:           _ZL10k_get_rowsILi32ELi1EXadL_ZL15dequantize_q8_0PKvliR15HIP_vector_typeIfLj2EEEE14__hip_bfloat16EvS1_PKiPT2_llS2_IjLj3EEmmmmmmmmm
    .private_segment_fixed_size: 0
    .sgpr_count:     54
    .sgpr_spill_count: 0
    .symbol:         _ZL10k_get_rowsILi32ELi1EXadL_ZL15dequantize_q8_0PKvliR15HIP_vector_typeIfLj2EEEE14__hip_bfloat16EvS1_PKiPT2_llS2_IjLj3EEmmmmmmmmm.kd
    .uniform_work_group_size: 1
    .uses_dynamic_stack: false
    .vgpr_count:     25
    .vgpr_spill_count: 0
    .wavefront_size: 64
  - .agpr_count:     0
    .args:
      - .actual_access:  read_only
        .address_space:  global
        .offset:         0
        .size:           8
        .value_kind:     global_buffer
      - .actual_access:  read_only
        .address_space:  global
        .offset:         8
        .size:           8
        .value_kind:     global_buffer
      - .actual_access:  write_only
        .address_space:  global
        .offset:         16
        .size:           8
        .value_kind:     global_buffer
      - .offset:         24
        .size:           8
        .value_kind:     by_value
      - .offset:         32
        .size:           8
        .value_kind:     by_value
      - .offset:         40
        .size:           4
        .value_kind:     hidden_block_count_x
      - .offset:         44
        .size:           4
        .value_kind:     hidden_block_count_y
      - .offset:         48
        .size:           4
        .value_kind:     hidden_block_count_z
      - .offset:         52
        .size:           2
        .value_kind:     hidden_group_size_x
      - .offset:         54
        .size:           2
        .value_kind:     hidden_group_size_y
      - .offset:         56
        .size:           2
        .value_kind:     hidden_group_size_z
      - .offset:         58
        .size:           2
        .value_kind:     hidden_remainder_x
      - .offset:         60
        .size:           2
        .value_kind:     hidden_remainder_y
      - .offset:         62
        .size:           2
        .value_kind:     hidden_remainder_z
      - .offset:         80
        .size:           8
        .value_kind:     hidden_global_offset_x
      - .offset:         88
        .size:           8
        .value_kind:     hidden_global_offset_y
      - .offset:         96
        .size:           8
        .value_kind:     hidden_global_offset_z
      - .offset:         104
        .size:           2
        .value_kind:     hidden_grid_dims
    .group_segment_fixed_size: 0
    .kernarg_segment_align: 8
    .kernarg_segment_size: 296
    .language:       OpenCL C
    .language_version:
      - 2
      - 0
    .max_flat_workgroup_size: 1024
    .name:           _ZL21k_get_rows_back_floatIffEvPKT_PKiPT0_ll
    .private_segment_fixed_size: 0
    .sgpr_count:     16
    .sgpr_spill_count: 0
    .symbol:         _ZL21k_get_rows_back_floatIffEvPKT_PKiPT0_ll.kd
    .uniform_work_group_size: 1
    .uses_dynamic_stack: false
    .vgpr_count:     8
    .vgpr_spill_count: 0
    .wavefront_size: 64
amdhsa.target:   amdgcn-amd-amdhsa--gfx90a
amdhsa.version:
  - 1
  - 2
...

	.end_amdgpu_metadata
